;; amdgpu-corpus repo=ROCm/rocSPARSE kind=compiled arch=gfx1250 opt=O3
	.amdgcn_target "amdgcn-amd-amdhsa--gfx1250"
	.amdhsa_code_object_version 6
	.section	.text._ZN9rocsparseL30bellmm_general_blockdim_kernelILi32ELi32EiiiiiEEv20rocsparse_operation_S1_20rocsparse_direction_T2_S3_NS_24const_host_device_scalarIT1_EES3_S3_PKS3_PKT3_PKT4_l16rocsparse_order_S6_PT5_lSF_21rocsparse_index_base_b,"axG",@progbits,_ZN9rocsparseL30bellmm_general_blockdim_kernelILi32ELi32EiiiiiEEv20rocsparse_operation_S1_20rocsparse_direction_T2_S3_NS_24const_host_device_scalarIT1_EES3_S3_PKS3_PKT3_PKT4_l16rocsparse_order_S6_PT5_lSF_21rocsparse_index_base_b,comdat
	.globl	_ZN9rocsparseL30bellmm_general_blockdim_kernelILi32ELi32EiiiiiEEv20rocsparse_operation_S1_20rocsparse_direction_T2_S3_NS_24const_host_device_scalarIT1_EES3_S3_PKS3_PKT3_PKT4_l16rocsparse_order_S6_PT5_lSF_21rocsparse_index_base_b ; -- Begin function _ZN9rocsparseL30bellmm_general_blockdim_kernelILi32ELi32EiiiiiEEv20rocsparse_operation_S1_20rocsparse_direction_T2_S3_NS_24const_host_device_scalarIT1_EES3_S3_PKS3_PKT3_PKT4_l16rocsparse_order_S6_PT5_lSF_21rocsparse_index_base_b
	.p2align	8
	.type	_ZN9rocsparseL30bellmm_general_blockdim_kernelILi32ELi32EiiiiiEEv20rocsparse_operation_S1_20rocsparse_direction_T2_S3_NS_24const_host_device_scalarIT1_EES3_S3_PKS3_PKT3_PKT4_l16rocsparse_order_S6_PT5_lSF_21rocsparse_index_base_b,@function
_ZN9rocsparseL30bellmm_general_blockdim_kernelILi32ELi32EiiiiiEEv20rocsparse_operation_S1_20rocsparse_direction_T2_S3_NS_24const_host_device_scalarIT1_EES3_S3_PKS3_PKT3_PKT4_l16rocsparse_order_S6_PT5_lSF_21rocsparse_index_base_b: ; @_ZN9rocsparseL30bellmm_general_blockdim_kernelILi32ELi32EiiiiiEEv20rocsparse_operation_S1_20rocsparse_direction_T2_S3_NS_24const_host_device_scalarIT1_EES3_S3_PKS3_PKT3_PKT4_l16rocsparse_order_S6_PT5_lSF_21rocsparse_index_base_b
; %bb.0:
	s_clause 0x1
	s_load_b96 s[20:22], s[0:1], 0x68
	s_load_b64 s[4:5], s[0:1], 0x18
	s_mov_b32 s7, -1
	s_wait_kmcnt 0x0
	s_bitcmp1_b32 s22, 0
                                        ; implicit-def: $sgpr22
	s_cselect_b32 s2, -1, 0
	s_delay_alu instid0(SALU_CYCLE_1) | instskip(NEXT) | instid1(SALU_CYCLE_1)
	s_xor_b32 s6, s2, -1
	s_and_b32 vcc_lo, exec_lo, s6
	s_cbranch_vccnz .LBB0_4
; %bb.1:
	s_load_b64 s[2:3], s[0:1], 0x50
	s_and_not1_b32 vcc_lo, exec_lo, s7
	s_cbranch_vccz .LBB0_5
.LBB0_2:
	s_and_b32 vcc_lo, exec_lo, s6
	s_cbranch_vccz .LBB0_6
.LBB0_3:
	s_wait_kmcnt 0x0
	s_load_b32 s23, s[2:3], 0x0
	s_wait_xcnt 0x0
	s_cbranch_execz .LBB0_7
	s_branch .LBB0_8
.LBB0_4:
	s_load_b32 s22, s[4:5], 0x0
	s_load_b64 s[2:3], s[0:1], 0x50
	s_cbranch_execnz .LBB0_2
.LBB0_5:
	s_wait_kmcnt 0x0
	s_mov_b32 s22, s4
	s_and_b32 vcc_lo, exec_lo, s6
	s_cbranch_vccnz .LBB0_3
.LBB0_6:
	s_wait_kmcnt 0x0
                                        ; implicit-def: $sgpr23
.LBB0_7:
	s_wait_kmcnt 0x0
	s_mov_b32 s23, s2
.LBB0_8:
	s_cmp_eq_u32 s22, 0
	s_mov_b32 s25, 0
	s_cselect_b32 s2, -1, 0
	s_wait_kmcnt 0x0
	s_cmp_eq_u32 s23, 1
	s_cselect_b32 s3, -1, 0
	s_delay_alu instid0(SALU_CYCLE_1) | instskip(NEXT) | instid1(SALU_CYCLE_1)
	s_and_b32 s2, s2, s3
	s_and_b32 vcc_lo, exec_lo, s2
	s_cbranch_vccnz .LBB0_48
; %bb.9:
	s_clause 0x1
	s_load_b128 s[12:15], s[0:1], 0x4
	s_load_b64 s[2:3], s[0:1], 0x20
	s_bfe_u32 s4, ttmp6, 0x4000c
	s_and_b32 s5, ttmp6, 15
	s_add_co_i32 s4, s4, 1
	s_getreg_b32 s26, hwreg(HW_REG_IB_STS2, 6, 4)
	s_mul_i32 s4, ttmp9, s4
	s_delay_alu instid0(SALU_CYCLE_1)
	s_add_co_i32 s5, s5, s4
	s_cmp_eq_u32 s26, 0
	s_cselect_b32 s24, ttmp9, s5
	s_wait_kmcnt 0x0
	s_cmp_lt_i32 s24, s14
	s_cselect_b32 s28, -1, 0
	s_cmp_ge_i32 s24, s14
	s_cbranch_scc1 .LBB0_11
; %bb.10:
	s_abs_i32 s4, s3
	s_abs_i32 s7, s2
	s_cvt_f32_u32 s5, s4
	s_sub_co_i32 s6, 0, s4
	s_xor_b32 s2, s2, s3
	s_delay_alu instid0(SALU_CYCLE_1) | instskip(SKIP_2) | instid1(TRANS32_DEP_1)
	s_ashr_i32 s2, s2, 31
	v_rcp_iflag_f32_e32 v1, s5
	v_nop
	v_readfirstlane_b32 s5, v1
	s_mul_f32 s5, s5, 0x4f7ffffe
	s_delay_alu instid0(SALU_CYCLE_3) | instskip(NEXT) | instid1(SALU_CYCLE_3)
	s_cvt_u32_f32 s5, s5
	s_mul_i32 s6, s6, s5
	s_delay_alu instid0(SALU_CYCLE_1) | instskip(NEXT) | instid1(SALU_CYCLE_1)
	s_mul_hi_u32 s6, s5, s6
	s_add_co_i32 s5, s5, s6
	s_delay_alu instid0(SALU_CYCLE_1) | instskip(NEXT) | instid1(SALU_CYCLE_1)
	s_mul_hi_u32 s5, s7, s5
	s_mul_i32 s6, s5, s4
	s_delay_alu instid0(SALU_CYCLE_1)
	s_sub_co_i32 s6, s7, s6
	s_add_co_i32 s7, s5, 1
	s_sub_co_i32 s8, s6, s4
	s_cmp_ge_u32 s6, s4
	s_cselect_b32 s5, s7, s5
	s_cselect_b32 s6, s8, s6
	s_add_co_i32 s7, s5, 1
	s_cmp_ge_u32 s6, s4
	s_cselect_b32 s4, s7, s5
	s_delay_alu instid0(SALU_CYCLE_1) | instskip(NEXT) | instid1(SALU_CYCLE_1)
	s_xor_b32 s4, s4, s2
	s_sub_co_i32 s25, s4, s2
.LBB0_11:
	s_cmp_lt_i32 s3, 1
	s_cbranch_scc1 .LBB0_48
; %bb.12:
	s_bfe_u32 s2, ttmp6, 0x40010
	s_load_b256 s[4:11], s[0:1], 0x28
	s_add_co_i32 s2, s2, 1
	s_bfe_u32 s27, ttmp6, 0x40004
	s_mul_i32 s2, ttmp7, s2
	s_load_b128 s[16:19], s[0:1], 0x58
	v_bfe_u32 v14, v0, 10, 10
	s_add_co_i32 s27, s27, s2
	s_cmp_eq_u32 s26, 0
	v_and_b32_e32 v15, 0x3ff, v0
	s_cselect_b32 s2, ttmp7, s27
	s_wait_xcnt 0x0
	s_load_b32 s0, s[0:1], 0x48
	v_lshl_add_u32 v2, s2, 5, v14
	s_mul_i32 s26, s3, s24
	s_cmp_gt_i32 s25, 0
	v_dual_add_nc_u32 v4, s26, v14 :: v_dual_lshlrev_b32 v17, 7, v14
	s_delay_alu instid0(VALU_DEP_2) | instskip(SKIP_2) | instid1(VALU_DEP_2)
	v_dual_ashrrev_i32 v3, 31, v2 :: v_dual_lshlrev_b32 v16, 2, v15
	s_cselect_b32 s27, -1, 0
	s_cmp_eq_u32 s12, 0x6f
	v_mul_lo_u32 v18, s3, v4
	s_wait_kmcnt 0x0
	v_mul_u64_e32 v[8:9], s[10:11], v[2:3]
	s_cselect_b32 s29, -1, 0
	v_or_b32_e32 v6, 0x1000, v16
	v_mul_u64_e32 v[0:1], s[18:19], v[2:3]
	v_dual_mov_b32 v5, 0 :: v_dual_add_nc_u32 v19, v16, v17
	v_add_nc_u32_e32 v20, 0x400, v16
	v_add_nc_u32_e32 v21, 0x800, v16
	;; [unrolled: 1-line block ×3, first 2 shown]
	s_cmp_lg_u32 s0, 1
	v_cmp_gt_i32_e64 s0, s15, v2
	s_cselect_b32 s30, -1, 0
	s_cmp_lg_u32 s13, 0
	v_lshl_add_u64 v[6:7], v[2:3], 2, s[8:9]
	s_cselect_b32 s12, -1, 0
	s_cmp_lg_u32 s20, 1
	v_add_nc_u32_e32 v23, 0xc00, v16
	s_cselect_b32 s13, -1, 0
	s_and_b32 s15, s28, s0
	s_cmp_lg_u32 s23, 0
	s_mul_i32 s1, s3, s3
	s_cselect_b32 s20, -1, 0
	s_xor_b32 s28, s29, s30
	s_mov_b32 s2, 0
	v_lshl_add_u64 v[8:9], v[8:9], 2, s[8:9]
	s_xor_b32 s8, s28, -1
	s_mul_i32 s9, s1, s14
	s_lshl_b32 s28, s3, 5
	s_branch .LBB0_14
.LBB0_13:                               ;   in Loop: Header=BB0_14 Depth=1
	s_wait_xcnt 0x0
	s_or_b32 exec_lo, exec_lo, s1
	v_add_nc_u32_e32 v18, 32, v18
	s_add_co_i32 s2, s2, 32
	s_delay_alu instid0(SALU_CYCLE_1)
	s_cmp_lt_i32 s2, s3
	s_cbranch_scc0 .LBB0_48
.LBB0_14:                               ; =>This Loop Header: Depth=1
                                        ;     Child Loop BB0_17 Depth 2
                                        ;       Child Loop BB0_19 Depth 3
	v_dual_mov_b32 v25, v5 :: v_dual_add_nc_u32 v24, s2, v15
	s_and_not1_b32 vcc_lo, exec_lo, s27
	s_delay_alu instid0(VALU_DEP_1)
	v_cmp_gt_i32_e64 s1, s3, v24
	s_cbranch_vccnz .LBB0_39
; %bb.15:                               ;   in Loop: Header=BB0_14 Depth=1
	v_dual_mov_b32 v25, 0 :: v_dual_mov_b32 v10, v18
	s_mov_b32 s29, 0
	s_branch .LBB0_17
.LBB0_16:                               ;   in Loop: Header=BB0_17 Depth=2
	v_add_nc_u32_e32 v10, s9, v10
	s_add_co_i32 s29, s29, 1
	s_delay_alu instid0(SALU_CYCLE_1)
	s_cmp_eq_u32 s29, s25
	s_cbranch_scc1 .LBB0_39
.LBB0_17:                               ;   Parent Loop BB0_14 Depth=1
                                        ; =>  This Loop Header: Depth=2
                                        ;       Child Loop BB0_19 Depth 3
	s_mul_i32 s30, s29, s14
	s_delay_alu instid0(VALU_DEP_1)
	v_add_nc_u32_e32 v13, v15, v10
	s_add_co_i32 s30, s30, s24
	s_mov_b32 s33, 0
	s_ashr_i32 s31, s30, 31
	v_mad_u32 v4, s30, s3, v24
	s_lshl_b64 s[34:35], s[30:31], 2
	s_delay_alu instid0(SALU_CYCLE_1) | instskip(SKIP_1) | instid1(VALU_DEP_1)
	s_add_nc_u64 s[34:35], s[4:5], s[34:35]
	s_load_b32 s31, s[34:35], 0x0
	v_mul_lo_u32 v11, v4, s3
	s_wait_kmcnt 0x0
	s_sub_co_i32 s30, s31, s21
	s_mov_b32 s31, 0
	v_mad_u32 v12, s30, s3, v15
	s_cmp_gt_i32 s30, -1
	s_cselect_b32 s30, -1, 0
	s_branch .LBB0_19
.LBB0_18:                               ;   in Loop: Header=BB0_19 Depth=3
	s_add_co_i32 s33, s33, 32
	s_add_co_i32 s31, s31, s28
	s_cmp_ge_i32 s33, s3
	s_barrier_signal -1
	s_barrier_wait -1
	s_cbranch_scc1 .LBB0_16
.LBB0_19:                               ;   Parent Loop BB0_14 Depth=1
                                        ;     Parent Loop BB0_17 Depth=2
                                        ; =>    This Inner Loop Header: Depth=3
	v_add_nc_u32_e32 v4, s33, v15
	s_wait_xcnt 0x0
	s_mov_b32 s35, -1
	s_delay_alu instid0(VALU_DEP_1)
	v_cmp_gt_i32_e32 vcc_lo, s3, v4
                                        ; implicit-def: $vgpr4
	s_and_b32 s34, s0, vcc_lo
	s_and_b32 vcc_lo, exec_lo, s8
	s_and_b32 s34, s34, s30
	s_cbranch_vccz .LBB0_23
; %bb.20:                               ;   in Loop: Header=BB0_19 Depth=3
	v_mov_b32_e32 v4, 0
	s_and_saveexec_b32 s35, s34
	s_cbranch_execz .LBB0_22
; %bb.21:                               ;   in Loop: Header=BB0_19 Depth=3
	v_add_nc_u32_e32 v4, s33, v12
	s_delay_alu instid0(VALU_DEP_1) | instskip(NEXT) | instid1(VALU_DEP_1)
	v_mul_u64_e32 v[26:27], s[10:11], v[4:5]
	v_lshl_add_u64 v[26:27], v[26:27], 2, v[6:7]
	global_load_b32 v4, v[26:27], off
.LBB0_22:                               ;   in Loop: Header=BB0_19 Depth=3
	s_wait_xcnt 0x0
	s_or_b32 exec_lo, exec_lo, s35
	s_mov_b32 s35, 0
.LBB0_23:                               ;   in Loop: Header=BB0_19 Depth=3
	s_delay_alu instid0(SALU_CYCLE_1)
	s_and_not1_b32 vcc_lo, exec_lo, s35
	s_cbranch_vccnz .LBB0_27
; %bb.24:                               ;   in Loop: Header=BB0_19 Depth=3
	s_wait_loadcnt 0x0
	v_mov_b32_e32 v4, 0
	s_and_saveexec_b32 s35, s34
	s_cbranch_execz .LBB0_26
; %bb.25:                               ;   in Loop: Header=BB0_19 Depth=3
	v_add_nc_u32_e32 v4, s33, v12
	s_delay_alu instid0(VALU_DEP_1)
	v_lshl_add_u64 v[26:27], v[4:5], 2, v[8:9]
	global_load_b32 v4, v[26:27], off
.LBB0_26:                               ;   in Loop: Header=BB0_19 Depth=3
	s_wait_xcnt 0x0
	s_or_b32 exec_lo, exec_lo, s35
.LBB0_27:                               ;   in Loop: Header=BB0_19 Depth=3
	v_add_nc_u32_e32 v26, s33, v14
	s_wait_loadcnt 0x0
	ds_store_b32 v22, v4
	v_cmp_gt_i32_e32 vcc_lo, s3, v26
	s_and_b32 s34, s1, vcc_lo
	s_and_b32 vcc_lo, exec_lo, s12
	s_and_b32 s35, s34, s30
	s_cbranch_vccz .LBB0_35
; %bb.28:                               ;   in Loop: Header=BB0_19 Depth=3
	s_mov_b32 s36, 0
	s_mov_b32 s34, 0
                                        ; implicit-def: $vgpr4
	s_and_saveexec_b32 s37, s35
	s_delay_alu instid0(SALU_CYCLE_1)
	s_xor_b32 s37, exec_lo, s37
; %bb.29:                               ;   in Loop: Header=BB0_19 Depth=3
	s_mov_b32 s34, exec_lo
	v_add_nc_u32_e32 v4, s31, v13
; %bb.30:                               ;   in Loop: Header=BB0_19 Depth=3
	s_or_b32 exec_lo, exec_lo, s37
	s_delay_alu instid0(SALU_CYCLE_1)
	s_and_b32 vcc_lo, exec_lo, s36
	s_cbranch_vccnz .LBB0_36
.LBB0_31:                               ;   in Loop: Header=BB0_19 Depth=3
	v_mov_b32_e32 v26, 0
	s_and_saveexec_b32 s35, s34
	s_cbranch_execz .LBB0_33
.LBB0_32:                               ;   in Loop: Header=BB0_19 Depth=3
	global_load_b32 v26, v4, s[6:7] scale_offset
.LBB0_33:                               ;   in Loop: Header=BB0_19 Depth=3
	s_wait_xcnt 0x0
	s_or_b32 exec_lo, exec_lo, s35
	s_delay_alu instid0(SALU_CYCLE_1)
	s_and_not1_b32 vcc_lo, exec_lo, s30
	s_wait_loadcnt 0x0
	ds_store_b32 v19, v26
	s_wait_dscnt 0x0
	s_barrier_signal -1
	s_barrier_wait -1
	s_cbranch_vccnz .LBB0_18
; %bb.34:                               ;   in Loop: Header=BB0_19 Depth=3
	ds_load_2addr_b32 v[34:35], v16 offset1:32
	ds_load_b128 v[26:29], v17 offset:4096
	ds_load_b128 v[30:33], v17 offset:4112
	ds_load_2addr_b32 v[36:37], v16 offset0:64 offset1:96
	s_wait_dscnt 0x2
	v_mad_u32 v4, v26, v34, v25
	s_delay_alu instid0(VALU_DEP_1) | instskip(SKIP_4) | instid1(VALU_DEP_1)
	v_mad_u32 v4, v27, v35, v4
	ds_load_2addr_b32 v[26:27], v16 offset0:128 offset1:160
	ds_load_2addr_b32 v[34:35], v16 offset0:192 offset1:224
	s_wait_dscnt 0x2
	v_mad_u32 v4, v28, v36, v4
	v_mad_u32 v4, v29, v37, v4
	s_wait_dscnt 0x1
	s_delay_alu instid0(VALU_DEP_1) | instskip(NEXT) | instid1(VALU_DEP_1)
	v_mad_u32 v4, v30, v26, v4
	v_mad_u32 v4, v31, v27, v4
	ds_load_b128 v[26:29], v17 offset:4128
	ds_load_2addr_b32 v[36:37], v20 offset1:32
	s_wait_dscnt 0x2
	v_mad_u32 v4, v32, v34, v4
	s_delay_alu instid0(VALU_DEP_1) | instskip(SKIP_4) | instid1(VALU_DEP_1)
	v_mad_u32 v4, v33, v35, v4
	ds_load_2addr_b32 v[34:35], v20 offset0:64 offset1:96
	ds_load_b128 v[30:33], v17 offset:4144
	s_wait_dscnt 0x2
	v_mad_u32 v4, v26, v36, v4
	v_mad_u32 v4, v27, v37, v4
	ds_load_2addr_b32 v[26:27], v20 offset0:128 offset1:160
	s_wait_dscnt 0x2
	v_mad_u32 v4, v28, v34, v4
	s_delay_alu instid0(VALU_DEP_1) | instskip(SKIP_3) | instid1(VALU_DEP_1)
	v_mad_u32 v4, v29, v35, v4
	ds_load_2addr_b32 v[34:35], v20 offset0:192 offset1:224
	s_wait_dscnt 0x1
	v_mad_u32 v4, v30, v26, v4
	v_mad_u32 v4, v31, v27, v4
	ds_load_2addr_b32 v[36:37], v21 offset1:32
	ds_load_b128 v[26:29], v17 offset:4160
	s_wait_dscnt 0x2
	v_mad_u32 v4, v32, v34, v4
	s_delay_alu instid0(VALU_DEP_1) | instskip(SKIP_4) | instid1(VALU_DEP_1)
	v_mad_u32 v4, v33, v35, v4
	ds_load_2addr_b32 v[34:35], v21 offset0:64 offset1:96
	ds_load_b128 v[30:33], v17 offset:4176
	s_wait_dscnt 0x2
	v_mad_u32 v4, v26, v36, v4
	v_mad_u32 v4, v27, v37, v4
	ds_load_2addr_b32 v[26:27], v21 offset0:128 offset1:160
	s_wait_dscnt 0x2
	v_mad_u32 v4, v28, v34, v4
	s_delay_alu instid0(VALU_DEP_1) | instskip(SKIP_3) | instid1(VALU_DEP_1)
	v_mad_u32 v4, v29, v35, v4
	ds_load_2addr_b32 v[34:35], v21 offset0:192 offset1:224
	s_wait_dscnt 0x1
	v_mad_u32 v4, v30, v26, v4
	v_mad_u32 v4, v31, v27, v4
	ds_load_2addr_b32 v[36:37], v23 offset1:32
	ds_load_b128 v[26:29], v17 offset:4192
	s_wait_dscnt 0x2
	v_mad_u32 v4, v32, v34, v4
	s_delay_alu instid0(VALU_DEP_1) | instskip(SKIP_4) | instid1(VALU_DEP_1)
	v_mad_u32 v4, v33, v35, v4
	ds_load_2addr_b32 v[34:35], v23 offset0:64 offset1:96
	ds_load_b128 v[30:33], v17 offset:4208
	s_wait_dscnt 0x2
	v_mad_u32 v4, v26, v36, v4
	v_mad_u32 v4, v27, v37, v4
	ds_load_2addr_b32 v[26:27], v23 offset0:128 offset1:160
	s_wait_dscnt 0x2
	v_mad_u32 v4, v28, v34, v4
	s_delay_alu instid0(VALU_DEP_1) | instskip(SKIP_3) | instid1(VALU_DEP_1)
	v_mad_u32 v4, v29, v35, v4
	ds_load_2addr_b32 v[28:29], v23 offset0:192 offset1:224
	s_wait_dscnt 0x1
	v_mad_u32 v4, v30, v26, v4
	v_mad_u32 v4, v31, v27, v4
	s_wait_dscnt 0x0
	s_delay_alu instid0(VALU_DEP_1) | instskip(NEXT) | instid1(VALU_DEP_1)
	v_mad_u32 v4, v32, v28, v4
	v_mad_u32 v25, v33, v29, v4
	s_branch .LBB0_18
.LBB0_35:                               ;   in Loop: Header=BB0_19 Depth=3
	s_mov_b32 s34, 0
                                        ; implicit-def: $vgpr4
	s_cbranch_execz .LBB0_31
.LBB0_36:                               ;   in Loop: Header=BB0_19 Depth=3
                                        ; implicit-def: $vgpr4
	s_and_saveexec_b32 s36, s35
; %bb.37:                               ;   in Loop: Header=BB0_19 Depth=3
	v_add_nc_u32_e32 v4, v26, v11
	s_or_b32 s34, s34, exec_lo
; %bb.38:                               ;   in Loop: Header=BB0_19 Depth=3
	s_or_b32 exec_lo, exec_lo, s36
	v_mov_b32_e32 v26, 0
	s_and_saveexec_b32 s35, s34
	s_cbranch_execnz .LBB0_32
	s_branch .LBB0_33
.LBB0_39:                               ;   in Loop: Header=BB0_14 Depth=1
	v_add_nc_u32_e32 v12, s26, v24
	s_and_b32 vcc_lo, exec_lo, s13
	s_mov_b32 s1, -1
                                        ; implicit-def: $vgpr10_vgpr11
	s_delay_alu instid0(VALU_DEP_1)
	v_ashrrev_i32_e32 v13, 31, v12
	s_cbranch_vccnz .LBB0_42
; %bb.40:                               ;   in Loop: Header=BB0_14 Depth=1
	s_and_not1_b32 vcc_lo, exec_lo, s1
	s_cbranch_vccz .LBB0_43
.LBB0_41:                               ;   in Loop: Header=BB0_14 Depth=1
	v_cmp_gt_i32_e32 vcc_lo, s3, v24
	s_and_b32 s29, s15, vcc_lo
	s_delay_alu instid0(SALU_CYCLE_1)
	s_and_saveexec_b32 s1, s29
	s_cbranch_execz .LBB0_13
	s_branch .LBB0_44
.LBB0_42:                               ;   in Loop: Header=BB0_14 Depth=1
	v_mad_nc_u64_u32 v[10:11], s18, v12, v[2:3]
	s_delay_alu instid0(VALU_DEP_1) | instskip(NEXT) | instid1(VALU_DEP_1)
	v_mad_u32 v4, s19, v12, v11
	v_mad_u32 v11, s18, v13, v4
	s_cbranch_execnz .LBB0_41
.LBB0_43:                               ;   in Loop: Header=BB0_14 Depth=1
	s_delay_alu instid0(VALU_DEP_1) | instskip(SKIP_2) | instid1(SALU_CYCLE_1)
	v_add_nc_u64_e32 v[10:11], v[0:1], v[12:13]
	v_cmp_gt_i32_e32 vcc_lo, s3, v24
	s_and_b32 s29, s15, vcc_lo
	s_and_saveexec_b32 s1, s29
	s_cbranch_execz .LBB0_13
.LBB0_44:                               ;   in Loop: Header=BB0_14 Depth=1
	v_mul_lo_u32 v4, v25, s22
	s_delay_alu instid0(VALU_DEP_3)
	v_lshl_add_u64 v[10:11], v[10:11], 2, s[16:17]
	s_and_b32 vcc_lo, exec_lo, s20
	s_cbranch_vccz .LBB0_46
; %bb.45:                               ;   in Loop: Header=BB0_14 Depth=1
	global_load_b32 v12, v[10:11], off
	s_wait_loadcnt 0x0
	v_mad_u32 v12, v12, s23, v4
	global_store_b32 v[10:11], v12, off
	s_cbranch_execnz .LBB0_13
	s_branch .LBB0_47
.LBB0_46:                               ;   in Loop: Header=BB0_14 Depth=1
.LBB0_47:                               ;   in Loop: Header=BB0_14 Depth=1
	global_store_b32 v[10:11], v4, off
	s_branch .LBB0_13
.LBB0_48:
	s_endpgm
	.section	.rodata,"a",@progbits
	.p2align	6, 0x0
	.amdhsa_kernel _ZN9rocsparseL30bellmm_general_blockdim_kernelILi32ELi32EiiiiiEEv20rocsparse_operation_S1_20rocsparse_direction_T2_S3_NS_24const_host_device_scalarIT1_EES3_S3_PKS3_PKT3_PKT4_l16rocsparse_order_S6_PT5_lSF_21rocsparse_index_base_b
		.amdhsa_group_segment_fixed_size 8192
		.amdhsa_private_segment_fixed_size 0
		.amdhsa_kernarg_size 116
		.amdhsa_user_sgpr_count 2
		.amdhsa_user_sgpr_dispatch_ptr 0
		.amdhsa_user_sgpr_queue_ptr 0
		.amdhsa_user_sgpr_kernarg_segment_ptr 1
		.amdhsa_user_sgpr_dispatch_id 0
		.amdhsa_user_sgpr_kernarg_preload_length 0
		.amdhsa_user_sgpr_kernarg_preload_offset 0
		.amdhsa_user_sgpr_private_segment_size 0
		.amdhsa_wavefront_size32 1
		.amdhsa_uses_dynamic_stack 0
		.amdhsa_enable_private_segment 0
		.amdhsa_system_sgpr_workgroup_id_x 1
		.amdhsa_system_sgpr_workgroup_id_y 1
		.amdhsa_system_sgpr_workgroup_id_z 0
		.amdhsa_system_sgpr_workgroup_info 0
		.amdhsa_system_vgpr_workitem_id 1
		.amdhsa_next_free_vgpr 38
		.amdhsa_next_free_sgpr 38
		.amdhsa_named_barrier_count 0
		.amdhsa_reserve_vcc 1
		.amdhsa_float_round_mode_32 0
		.amdhsa_float_round_mode_16_64 0
		.amdhsa_float_denorm_mode_32 3
		.amdhsa_float_denorm_mode_16_64 3
		.amdhsa_fp16_overflow 0
		.amdhsa_memory_ordered 1
		.amdhsa_forward_progress 1
		.amdhsa_inst_pref_size 16
		.amdhsa_round_robin_scheduling 0
		.amdhsa_exception_fp_ieee_invalid_op 0
		.amdhsa_exception_fp_denorm_src 0
		.amdhsa_exception_fp_ieee_div_zero 0
		.amdhsa_exception_fp_ieee_overflow 0
		.amdhsa_exception_fp_ieee_underflow 0
		.amdhsa_exception_fp_ieee_inexact 0
		.amdhsa_exception_int_div_zero 0
	.end_amdhsa_kernel
	.section	.text._ZN9rocsparseL30bellmm_general_blockdim_kernelILi32ELi32EiiiiiEEv20rocsparse_operation_S1_20rocsparse_direction_T2_S3_NS_24const_host_device_scalarIT1_EES3_S3_PKS3_PKT3_PKT4_l16rocsparse_order_S6_PT5_lSF_21rocsparse_index_base_b,"axG",@progbits,_ZN9rocsparseL30bellmm_general_blockdim_kernelILi32ELi32EiiiiiEEv20rocsparse_operation_S1_20rocsparse_direction_T2_S3_NS_24const_host_device_scalarIT1_EES3_S3_PKS3_PKT3_PKT4_l16rocsparse_order_S6_PT5_lSF_21rocsparse_index_base_b,comdat
.Lfunc_end0:
	.size	_ZN9rocsparseL30bellmm_general_blockdim_kernelILi32ELi32EiiiiiEEv20rocsparse_operation_S1_20rocsparse_direction_T2_S3_NS_24const_host_device_scalarIT1_EES3_S3_PKS3_PKT3_PKT4_l16rocsparse_order_S6_PT5_lSF_21rocsparse_index_base_b, .Lfunc_end0-_ZN9rocsparseL30bellmm_general_blockdim_kernelILi32ELi32EiiiiiEEv20rocsparse_operation_S1_20rocsparse_direction_T2_S3_NS_24const_host_device_scalarIT1_EES3_S3_PKS3_PKT3_PKT4_l16rocsparse_order_S6_PT5_lSF_21rocsparse_index_base_b
                                        ; -- End function
	.set _ZN9rocsparseL30bellmm_general_blockdim_kernelILi32ELi32EiiiiiEEv20rocsparse_operation_S1_20rocsparse_direction_T2_S3_NS_24const_host_device_scalarIT1_EES3_S3_PKS3_PKT3_PKT4_l16rocsparse_order_S6_PT5_lSF_21rocsparse_index_base_b.num_vgpr, 38
	.set _ZN9rocsparseL30bellmm_general_blockdim_kernelILi32ELi32EiiiiiEEv20rocsparse_operation_S1_20rocsparse_direction_T2_S3_NS_24const_host_device_scalarIT1_EES3_S3_PKS3_PKT3_PKT4_l16rocsparse_order_S6_PT5_lSF_21rocsparse_index_base_b.num_agpr, 0
	.set _ZN9rocsparseL30bellmm_general_blockdim_kernelILi32ELi32EiiiiiEEv20rocsparse_operation_S1_20rocsparse_direction_T2_S3_NS_24const_host_device_scalarIT1_EES3_S3_PKS3_PKT3_PKT4_l16rocsparse_order_S6_PT5_lSF_21rocsparse_index_base_b.numbered_sgpr, 38
	.set _ZN9rocsparseL30bellmm_general_blockdim_kernelILi32ELi32EiiiiiEEv20rocsparse_operation_S1_20rocsparse_direction_T2_S3_NS_24const_host_device_scalarIT1_EES3_S3_PKS3_PKT3_PKT4_l16rocsparse_order_S6_PT5_lSF_21rocsparse_index_base_b.num_named_barrier, 0
	.set _ZN9rocsparseL30bellmm_general_blockdim_kernelILi32ELi32EiiiiiEEv20rocsparse_operation_S1_20rocsparse_direction_T2_S3_NS_24const_host_device_scalarIT1_EES3_S3_PKS3_PKT3_PKT4_l16rocsparse_order_S6_PT5_lSF_21rocsparse_index_base_b.private_seg_size, 0
	.set _ZN9rocsparseL30bellmm_general_blockdim_kernelILi32ELi32EiiiiiEEv20rocsparse_operation_S1_20rocsparse_direction_T2_S3_NS_24const_host_device_scalarIT1_EES3_S3_PKS3_PKT3_PKT4_l16rocsparse_order_S6_PT5_lSF_21rocsparse_index_base_b.uses_vcc, 1
	.set _ZN9rocsparseL30bellmm_general_blockdim_kernelILi32ELi32EiiiiiEEv20rocsparse_operation_S1_20rocsparse_direction_T2_S3_NS_24const_host_device_scalarIT1_EES3_S3_PKS3_PKT3_PKT4_l16rocsparse_order_S6_PT5_lSF_21rocsparse_index_base_b.uses_flat_scratch, 0
	.set _ZN9rocsparseL30bellmm_general_blockdim_kernelILi32ELi32EiiiiiEEv20rocsparse_operation_S1_20rocsparse_direction_T2_S3_NS_24const_host_device_scalarIT1_EES3_S3_PKS3_PKT3_PKT4_l16rocsparse_order_S6_PT5_lSF_21rocsparse_index_base_b.has_dyn_sized_stack, 0
	.set _ZN9rocsparseL30bellmm_general_blockdim_kernelILi32ELi32EiiiiiEEv20rocsparse_operation_S1_20rocsparse_direction_T2_S3_NS_24const_host_device_scalarIT1_EES3_S3_PKS3_PKT3_PKT4_l16rocsparse_order_S6_PT5_lSF_21rocsparse_index_base_b.has_recursion, 0
	.set _ZN9rocsparseL30bellmm_general_blockdim_kernelILi32ELi32EiiiiiEEv20rocsparse_operation_S1_20rocsparse_direction_T2_S3_NS_24const_host_device_scalarIT1_EES3_S3_PKS3_PKT3_PKT4_l16rocsparse_order_S6_PT5_lSF_21rocsparse_index_base_b.has_indirect_call, 0
	.section	.AMDGPU.csdata,"",@progbits
; Kernel info:
; codeLenInByte = 2016
; TotalNumSgprs: 40
; NumVgprs: 38
; ScratchSize: 0
; MemoryBound: 0
; FloatMode: 240
; IeeeMode: 1
; LDSByteSize: 8192 bytes/workgroup (compile time only)
; SGPRBlocks: 0
; VGPRBlocks: 2
; NumSGPRsForWavesPerEU: 40
; NumVGPRsForWavesPerEU: 38
; NamedBarCnt: 0
; Occupancy: 16
; WaveLimiterHint : 1
; COMPUTE_PGM_RSRC2:SCRATCH_EN: 0
; COMPUTE_PGM_RSRC2:USER_SGPR: 2
; COMPUTE_PGM_RSRC2:TRAP_HANDLER: 0
; COMPUTE_PGM_RSRC2:TGID_X_EN: 1
; COMPUTE_PGM_RSRC2:TGID_Y_EN: 1
; COMPUTE_PGM_RSRC2:TGID_Z_EN: 0
; COMPUTE_PGM_RSRC2:TIDIG_COMP_CNT: 1
	.section	.text._ZN9rocsparseL30bellmm_general_blockdim_kernelILi32ELi32EiliiiEEv20rocsparse_operation_S1_20rocsparse_direction_T2_S3_NS_24const_host_device_scalarIT1_EES3_S3_PKS3_PKT3_PKT4_l16rocsparse_order_S6_PT5_lSF_21rocsparse_index_base_b,"axG",@progbits,_ZN9rocsparseL30bellmm_general_blockdim_kernelILi32ELi32EiliiiEEv20rocsparse_operation_S1_20rocsparse_direction_T2_S3_NS_24const_host_device_scalarIT1_EES3_S3_PKS3_PKT3_PKT4_l16rocsparse_order_S6_PT5_lSF_21rocsparse_index_base_b,comdat
	.globl	_ZN9rocsparseL30bellmm_general_blockdim_kernelILi32ELi32EiliiiEEv20rocsparse_operation_S1_20rocsparse_direction_T2_S3_NS_24const_host_device_scalarIT1_EES3_S3_PKS3_PKT3_PKT4_l16rocsparse_order_S6_PT5_lSF_21rocsparse_index_base_b ; -- Begin function _ZN9rocsparseL30bellmm_general_blockdim_kernelILi32ELi32EiliiiEEv20rocsparse_operation_S1_20rocsparse_direction_T2_S3_NS_24const_host_device_scalarIT1_EES3_S3_PKS3_PKT3_PKT4_l16rocsparse_order_S6_PT5_lSF_21rocsparse_index_base_b
	.p2align	8
	.type	_ZN9rocsparseL30bellmm_general_blockdim_kernelILi32ELi32EiliiiEEv20rocsparse_operation_S1_20rocsparse_direction_T2_S3_NS_24const_host_device_scalarIT1_EES3_S3_PKS3_PKT3_PKT4_l16rocsparse_order_S6_PT5_lSF_21rocsparse_index_base_b,@function
_ZN9rocsparseL30bellmm_general_blockdim_kernelILi32ELi32EiliiiEEv20rocsparse_operation_S1_20rocsparse_direction_T2_S3_NS_24const_host_device_scalarIT1_EES3_S3_PKS3_PKT3_PKT4_l16rocsparse_order_S6_PT5_lSF_21rocsparse_index_base_b: ; @_ZN9rocsparseL30bellmm_general_blockdim_kernelILi32ELi32EiliiiEEv20rocsparse_operation_S1_20rocsparse_direction_T2_S3_NS_24const_host_device_scalarIT1_EES3_S3_PKS3_PKT3_PKT4_l16rocsparse_order_S6_PT5_lSF_21rocsparse_index_base_b
; %bb.0:
	s_clause 0x1
	s_load_b96 s[20:22], s[0:1], 0x78
	s_load_b256 s[4:11], s[0:1], 0x10
	s_mov_b32 s13, -1
                                        ; implicit-def: $sgpr33
	s_wait_kmcnt 0x0
	s_bitcmp1_b32 s22, 0
	s_cselect_b32 s2, -1, 0
	s_delay_alu instid0(SALU_CYCLE_1) | instskip(NEXT) | instid1(SALU_CYCLE_1)
	s_xor_b32 s12, s2, -1
	s_and_b32 vcc_lo, exec_lo, s12
	s_cbranch_vccnz .LBB1_4
; %bb.1:
	s_load_b64 s[2:3], s[0:1], 0x60
	s_and_not1_b32 vcc_lo, exec_lo, s13
	s_cbranch_vccz .LBB1_5
.LBB1_2:
	s_and_b32 vcc_lo, exec_lo, s12
	s_cbranch_vccz .LBB1_6
.LBB1_3:
	s_wait_kmcnt 0x0
	s_load_b32 s38, s[2:3], 0x0
	s_wait_xcnt 0x0
	s_cbranch_execz .LBB1_7
	s_branch .LBB1_8
.LBB1_4:
	s_load_b32 s33, s[8:9], 0x0
	s_load_b64 s[2:3], s[0:1], 0x60
	s_cbranch_execnz .LBB1_2
.LBB1_5:
	s_wait_kmcnt 0x0
	s_mov_b32 s33, s8
	s_and_b32 vcc_lo, exec_lo, s12
	s_cbranch_vccnz .LBB1_3
.LBB1_6:
	s_wait_kmcnt 0x0
                                        ; implicit-def: $sgpr38
.LBB1_7:
	s_wait_kmcnt 0x0
	s_mov_b32 s38, s2
.LBB1_8:
	s_cmp_eq_u32 s33, 0
	s_cselect_b32 s2, -1, 0
	s_wait_kmcnt 0x0
	s_cmp_eq_u32 s38, 1
	s_cselect_b32 s3, -1, 0
	s_delay_alu instid0(SALU_CYCLE_1)
	s_and_b32 s2, s2, s3
	s_mov_b32 s3, 0
	s_and_b32 vcc_lo, exec_lo, s2
	s_cbranch_vccnz .LBB1_48
; %bb.9:
	s_bfe_u32 s2, ttmp6, 0x4000c
	s_load_b64 s[22:23], s[0:1], 0x30
	s_add_co_i32 s2, s2, 1
	s_and_b32 s8, ttmp6, 15
	s_mul_i32 s2, ttmp9, s2
	s_getreg_b32 s16, hwreg(HW_REG_IB_STS2, 6, 4)
	s_add_co_i32 s8, s8, s2
	s_cmp_eq_u32 s16, 0
	s_mov_b64 s[24:25], 0
	s_cselect_b32 s2, ttmp9, s8
	s_delay_alu instid0(SALU_CYCLE_1)
	v_cmp_le_i64_e64 s8, s[4:5], s[2:3]
	v_cmp_gt_i64_e64 s28, s[4:5], s[2:3]
	s_and_b32 vcc_lo, exec_lo, s8
	s_cbranch_vccnz .LBB1_13
; %bb.10:
	s_wait_kmcnt 0x0
	s_or_b64 s[8:9], s[10:11], s[22:23]
	s_delay_alu instid0(SALU_CYCLE_1) | instskip(NEXT) | instid1(SALU_CYCLE_1)
	s_and_b64 s[8:9], s[8:9], 0xffffffff00000000
	s_cmp_lg_u64 s[8:9], 0
	s_cbranch_scc0 .LBB1_49
; %bb.11:
	s_ashr_i32 s8, s23, 31
	s_delay_alu instid0(SALU_CYCLE_1) | instskip(NEXT) | instid1(SALU_CYCLE_1)
	s_mov_b32 s9, s8
	s_add_nc_u64 s[12:13], s[22:23], s[8:9]
	s_delay_alu instid0(SALU_CYCLE_1) | instskip(NEXT) | instid1(SALU_CYCLE_1)
	s_xor_b64 s[12:13], s[12:13], s[8:9]
	s_cvt_f32_u32 s14, s12
	s_cvt_f32_u32 s15, s13
	s_sub_nc_u64 s[24:25], 0, s[12:13]
	s_delay_alu instid0(SALU_CYCLE_2) | instskip(NEXT) | instid1(SALU_CYCLE_3)
	s_fmamk_f32 s14, s15, 0x4f800000, s14
	v_s_rcp_f32 s14, s14
	s_delay_alu instid0(TRANS32_DEP_1) | instskip(NEXT) | instid1(SALU_CYCLE_3)
	s_mul_f32 s14, s14, 0x5f7ffffc
	s_mul_f32 s15, s14, 0x2f800000
	s_delay_alu instid0(SALU_CYCLE_3) | instskip(NEXT) | instid1(SALU_CYCLE_3)
	s_trunc_f32 s15, s15
	s_fmamk_f32 s14, s15, 0xcf800000, s14
	s_cvt_u32_f32 s19, s15
	s_mov_b32 s15, 0
	s_delay_alu instid0(SALU_CYCLE_1) | instskip(NEXT) | instid1(SALU_CYCLE_3)
	s_cvt_u32_f32 s18, s14
	s_mul_u64 s[26:27], s[24:25], s[18:19]
	s_delay_alu instid0(SALU_CYCLE_1)
	s_mul_hi_u32 s31, s18, s27
	s_mul_i32 s30, s18, s27
	s_mul_hi_u32 s14, s18, s26
	s_mul_i32 s29, s19, s26
	s_add_nc_u64 s[30:31], s[14:15], s[30:31]
	s_mul_hi_u32 s17, s19, s26
	s_mul_hi_u32 s34, s19, s27
	s_add_co_u32 s14, s30, s29
	s_add_co_ci_u32 s14, s31, s17
	s_mul_i32 s26, s19, s27
	s_add_co_ci_u32 s27, s34, 0
	s_delay_alu instid0(SALU_CYCLE_1) | instskip(NEXT) | instid1(SALU_CYCLE_1)
	s_add_nc_u64 s[26:27], s[14:15], s[26:27]
	s_add_co_u32 s18, s18, s26
	s_cselect_b32 s14, -1, 0
	s_delay_alu instid0(SALU_CYCLE_1) | instskip(SKIP_1) | instid1(SALU_CYCLE_1)
	s_cmp_lg_u32 s14, 0
	s_add_co_ci_u32 s19, s19, s27
	s_mul_u64 s[24:25], s[24:25], s[18:19]
	s_delay_alu instid0(SALU_CYCLE_1)
	s_mul_hi_u32 s27, s18, s25
	s_mul_i32 s26, s18, s25
	s_mul_hi_u32 s14, s18, s24
	s_mul_i32 s29, s19, s24
	s_add_nc_u64 s[26:27], s[14:15], s[26:27]
	s_mul_hi_u32 s17, s19, s24
	s_mul_hi_u32 s30, s19, s25
	s_add_co_u32 s14, s26, s29
	s_add_co_ci_u32 s14, s27, s17
	s_mul_i32 s24, s19, s25
	s_add_co_ci_u32 s25, s30, 0
	s_delay_alu instid0(SALU_CYCLE_1) | instskip(NEXT) | instid1(SALU_CYCLE_1)
	s_add_nc_u64 s[24:25], s[14:15], s[24:25]
	s_add_co_u32 s17, s18, s24
	s_cselect_b32 s14, -1, 0
	s_delay_alu instid0(SALU_CYCLE_1) | instskip(SKIP_2) | instid1(SALU_CYCLE_1)
	s_cmp_lg_u32 s14, 0
	s_add_co_ci_u32 s29, s19, s25
	s_ashr_i32 s18, s11, 31
	s_mov_b32 s19, s18
	s_delay_alu instid0(SALU_CYCLE_1) | instskip(NEXT) | instid1(SALU_CYCLE_1)
	s_add_nc_u64 s[24:25], s[10:11], s[18:19]
	s_xor_b64 s[24:25], s[24:25], s[18:19]
	s_delay_alu instid0(SALU_CYCLE_1)
	s_mul_hi_u32 s27, s24, s29
	s_mul_i32 s26, s24, s29
	s_mul_hi_u32 s14, s24, s17
	s_mul_hi_u32 s31, s25, s17
	s_mul_i32 s17, s25, s17
	s_add_nc_u64 s[26:27], s[14:15], s[26:27]
	s_mul_hi_u32 s11, s25, s29
	s_add_co_u32 s14, s26, s17
	s_add_co_ci_u32 s14, s27, s31
	s_mul_i32 s30, s25, s29
	s_add_co_ci_u32 s31, s11, 0
	s_delay_alu instid0(SALU_CYCLE_1) | instskip(NEXT) | instid1(SALU_CYCLE_1)
	s_add_nc_u64 s[26:27], s[14:15], s[30:31]
	s_and_b64 s[30:31], s[26:27], 0xffffffff00000000
	s_delay_alu instid0(SALU_CYCLE_1) | instskip(NEXT) | instid1(SALU_CYCLE_1)
	s_or_b32 s30, s30, s26
	s_mul_u64 s[26:27], s[12:13], s[30:31]
	s_add_nc_u64 s[34:35], s[30:31], 1
	s_sub_co_u32 s11, s24, s26
	s_cselect_b32 s14, -1, 0
	s_sub_co_i32 s17, s25, s27
	s_cmp_lg_u32 s14, 0
	s_add_nc_u64 s[36:37], s[30:31], 2
	s_sub_co_ci_u32 s17, s17, s13
	s_sub_co_u32 s24, s11, s12
	s_cselect_b32 s26, -1, 0
	s_delay_alu instid0(SALU_CYCLE_1) | instskip(SKIP_1) | instid1(SALU_CYCLE_1)
	s_cmp_lg_u32 s26, 0
	s_sub_co_ci_u32 s17, s17, 0
	s_cmp_ge_u32 s17, s13
	s_cselect_b32 s26, -1, 0
	s_cmp_ge_u32 s24, s12
	s_cselect_b32 s24, -1, 0
	s_cmp_eq_u32 s17, s13
	s_cselect_b32 s17, s24, s26
	s_delay_alu instid0(SALU_CYCLE_1) | instskip(SKIP_4) | instid1(SALU_CYCLE_1)
	s_cmp_lg_u32 s17, 0
	s_cselect_b32 s17, s36, s34
	s_cselect_b32 s24, s37, s35
	s_cmp_lg_u32 s14, 0
	s_sub_co_ci_u32 s14, s25, s27
	s_cmp_ge_u32 s14, s13
	s_cselect_b32 s25, -1, 0
	s_cmp_ge_u32 s11, s12
	s_cselect_b32 s11, -1, 0
	s_cmp_eq_u32 s14, s13
	s_cselect_b32 s11, s11, s25
	s_delay_alu instid0(SALU_CYCLE_1) | instskip(SKIP_3) | instid1(SALU_CYCLE_1)
	s_cmp_lg_u32 s11, 0
	s_cselect_b32 s13, s24, s31
	s_cselect_b32 s12, s17, s30
	s_xor_b64 s[8:9], s[18:19], s[8:9]
	s_xor_b64 s[12:13], s[12:13], s[8:9]
	s_delay_alu instid0(SALU_CYCLE_1)
	s_sub_nc_u64 s[24:25], s[12:13], s[8:9]
	s_cbranch_execnz .LBB1_13
.LBB1_12:
	v_cvt_f32_u32_e32 v1, s22
	s_sub_co_i32 s9, 0, s22
	s_mov_b32 s25, 0
	s_delay_alu instid0(VALU_DEP_1) | instskip(SKIP_1) | instid1(TRANS32_DEP_1)
	v_rcp_iflag_f32_e32 v1, v1
	v_nop
	v_mul_f32_e32 v1, 0x4f7ffffe, v1
	s_delay_alu instid0(VALU_DEP_1) | instskip(NEXT) | instid1(VALU_DEP_1)
	v_cvt_u32_f32_e32 v1, v1
	v_readfirstlane_b32 s8, v1
	s_mul_i32 s9, s9, s8
	s_delay_alu instid0(SALU_CYCLE_1) | instskip(NEXT) | instid1(SALU_CYCLE_1)
	s_mul_hi_u32 s9, s8, s9
	s_add_co_i32 s8, s8, s9
	s_delay_alu instid0(SALU_CYCLE_1) | instskip(NEXT) | instid1(SALU_CYCLE_1)
	s_mul_hi_u32 s8, s10, s8
	s_mul_i32 s9, s8, s22
	s_delay_alu instid0(SALU_CYCLE_1)
	s_sub_co_i32 s9, s10, s9
	s_add_co_i32 s10, s8, 1
	s_sub_co_i32 s11, s9, s22
	s_cmp_ge_u32 s9, s22
	s_cselect_b32 s8, s10, s8
	s_cselect_b32 s9, s11, s9
	s_add_co_i32 s10, s8, 1
	s_cmp_ge_u32 s9, s22
	s_cselect_b32 s24, s10, s8
.LBB1_13:
	s_wait_kmcnt 0x0
	v_cmp_lt_i64_e64 s8, s[22:23], 1
	s_and_b32 vcc_lo, exec_lo, s8
	s_cbranch_vccnz .LBB1_48
; %bb.14:
	s_clause 0x1
	s_load_b64 s[30:31], s[0:1], 0x4
	s_load_b32 s29, s[0:1], 0x58
	s_bfe_u32 s8, ttmp6, 0x40010
	s_bfe_u32 s9, ttmp6, 0x40004
	s_add_co_i32 s8, s8, 1
	v_bfe_u32 v2, v0, 10, 10
	s_mul_i32 s8, ttmp7, s8
	v_and_b32_e32 v0, 0x3ff, v0
	s_add_co_i32 s9, s9, s8
	s_cmp_eq_u32 s16, 0
	v_mov_b32_e32 v3, 0
	s_cselect_b32 s8, ttmp7, s9
	s_mov_b32 s27, 0
	s_lshl_b32 s26, s8, 5
	v_lshlrev_b32_e32 v6, 2, v0
	v_add_nc_u64_e32 v[4:5], s[26:27], v[2:3]
	s_clause 0x1
	s_load_b128 s[16:19], s[0:1], 0x68
	s_load_b256 s[8:15], s[0:1], 0x38
	v_dual_mov_b32 v7, v3 :: v_dual_lshlrev_b32 v8, 2, v2
	v_dual_mov_b32 v9, v3 :: v_dual_lshlrev_b32 v32, 7, v2
	s_wait_kmcnt 0x0
	s_cmp_eq_u32 s30, 0x6f
	v_cmp_gt_i64_e64 s0, s[6:7], v[4:5]
	s_cselect_b32 s1, -1, 0
	s_cmp_lg_u32 s29, 1
	s_mul_u64 s[6:7], s[22:23], s[2:3]
	s_cselect_b32 s36, -1, 0
	s_cmp_lg_u32 s31, 0
	v_or_b32_e32 v20, 0x1000, v6
	s_cselect_b32 s39, -1, 0
	s_cmp_lg_u32 s20, 1
	v_cmp_gt_i64_e64 s43, s[24:25], 0
	s_cselect_b32 s40, -1, 0
	s_and_b32 s41, s28, s0
	s_cmp_lg_u32 s38, 0
	s_mul_u64 s[30:31], s[22:23], s[22:23]
	s_cselect_b32 s42, -1, 0
	s_lshl_b64 s[28:29], s[6:7], 2
	v_mul_u64_e32 v[14:15], s[14:15], v[4:5]
	v_add_nc_u64_e32 v[10:11], s[28:29], v[6:7]
	v_add_nc_u64_e32 v[12:13], s[28:29], v[8:9]
	v_dual_mov_b32 v1, v3 :: v_dual_add_nc_u32 v33, v6, v32
	v_add_nc_u32_e32 v34, v20, v32
	v_add_nc_u32_e32 v35, 0x800, v6
	;; [unrolled: 1-line block ×3, first 2 shown]
	v_mad_nc_u64_u32 v[16:17], s22, v10, v[8:9]
	v_mad_nc_u64_u32 v[18:19], s22, v12, v[6:7]
	v_mul_u64_e32 v[8:9], s[18:19], v[4:5]
	s_mul_u64 s[34:35], s[30:31], s[4:5]
	s_xor_b32 s1, s1, s36
	s_mov_b64 s[28:29], 0
	s_mov_b32 s26, s21
	s_lshl_b64 s[20:21], s[22:23], 2
	s_lshl_b64 s[30:31], s[22:23], 7
	s_xor_b32 s44, s1, -1
	s_delay_alu instid0(VALU_DEP_3) | instskip(NEXT) | instid1(VALU_DEP_3)
	v_mad_u32 v10, s23, v10, v17
	v_mad_u32 v12, s23, v12, v19
	s_delay_alu instid0(VALU_DEP_2) | instskip(NEXT) | instid1(VALU_DEP_2)
	v_mad_u32 v17, s22, v11, v10
	v_mad_u32 v19, s22, v13, v12
	v_lshl_add_u64 v[12:13], v[14:15], 2, v[6:7]
	v_lshl_add_u64 v[10:11], v[4:5], 2, s[12:13]
	v_add_nc_u32_e32 v7, 0x400, v6
	s_delay_alu instid0(VALU_DEP_3)
	v_add_nc_u64_e32 v[12:13], s[12:13], v[12:13]
	s_lshl_b64 s[12:13], s[14:15], 2
	s_lshl_b64 s[14:15], s[14:15], 7
	v_add_nc_u64_e32 v[14:15], s[10:11], v[16:17]
	v_add_nc_u64_e32 v[16:17], s[10:11], v[18:19]
	s_lshl_b64 s[10:11], s[34:35], 2
	s_branch .LBB1_16
.LBB1_15:                               ;   in Loop: Header=BB1_16 Depth=1
	s_wait_xcnt 0x0
	s_or_b32 exec_lo, exec_lo, s1
	s_add_nc_u64 s[28:29], s[28:29], 32
	v_add_nc_u64_e32 v[14:15], s[30:31], v[14:15]
	v_cmp_lt_i64_e64 s1, s[28:29], s[22:23]
	v_add_nc_u64_e32 v[16:17], 0x80, v[16:17]
	s_and_b32 vcc_lo, exec_lo, s1
	s_cbranch_vccz .LBB1_48
.LBB1_16:                               ; =>This Loop Header: Depth=1
                                        ;     Child Loop BB1_19 Depth 2
                                        ;       Child Loop BB1_21 Depth 3
	v_add_nc_u64_e32 v[18:19], s[28:29], v[0:1]
	v_mov_b32_e32 v37, 0
	s_and_not1_b32 vcc_lo, exec_lo, s43
	s_delay_alu instid0(VALU_DEP_2)
	v_cmp_gt_i64_e64 s1, s[22:23], v[18:19]
	s_cbranch_vccnz .LBB1_39
; %bb.17:                               ;   in Loop: Header=BB1_16 Depth=1
	v_mov_b64_e32 v[20:21], v[16:17]
	v_mov_b64_e32 v[22:23], v[14:15]
	v_mov_b32_e32 v37, 0
	s_mov_b64 s[34:35], 0
	s_branch .LBB1_19
.LBB1_18:                               ;   in Loop: Header=BB1_19 Depth=2
	v_add_nc_u64_e32 v[22:23], s[10:11], v[22:23]
	v_add_nc_u64_e32 v[20:21], s[10:11], v[20:21]
	s_add_nc_u64 s[34:35], s[34:35], 1
	s_delay_alu instid0(SALU_CYCLE_1)
	s_cmp_eq_u64 s[34:35], s[24:25]
	s_cbranch_scc1 .LBB1_39
.LBB1_19:                               ;   Parent Loop BB1_16 Depth=1
                                        ; =>  This Loop Header: Depth=2
                                        ;       Child Loop BB1_21 Depth 3
	s_mul_u64 s[36:37], s[34:35], s[4:5]
	s_delay_alu instid0(VALU_DEP_2) | instskip(SKIP_1) | instid1(SALU_CYCLE_1)
	v_mov_b64_e32 v[30:31], v[22:23]
	s_add_nc_u64 s[36:37], s[36:37], s[2:3]
	s_lshl_b64 s[36:37], s[36:37], 3
	s_delay_alu instid0(SALU_CYCLE_1) | instskip(SKIP_4) | instid1(SALU_CYCLE_1)
	s_add_nc_u64 s[36:37], s[8:9], s[36:37]
	s_load_b64 s[36:37], s[36:37], 0x0
	s_wait_kmcnt 0x0
	s_wait_xcnt 0x0
	s_sub_nc_u64 s[36:37], s[36:37], s[26:27]
	v_mad_nc_u64_u32 v[28:29], s36, s22, v[0:1]
	v_mad_nc_u64_u32 v[26:27], s20, s36, v[12:13]
	s_mul_i32 s45, s37, s22
	s_mul_i32 s46, s36, s23
	s_delay_alu instid0(VALU_DEP_2) | instskip(NEXT) | instid1(VALU_DEP_1)
	v_mad_nc_u64_u32 v[24:25], s12, v28, v[10:11]
	v_mad_u32 v25, s13, v28, v25
	s_delay_alu instid0(VALU_DEP_4)
	v_add3_u32 v28, s46, s45, v29
	s_mul_i32 s45, s21, s36
	s_mul_i32 s46, s20, s37
	s_delay_alu instid0(VALU_DEP_4) | instid1(SALU_CYCLE_1)
	v_add3_u32 v27, s46, s45, v27
	v_cmp_gt_i64_e64 s45, s[36:37], -1
	s_mov_b64 s[36:37], 0
	v_mad_u32 v25, s12, v28, v25
	v_mov_b64_e32 v[28:29], v[20:21]
	s_branch .LBB1_21
.LBB1_20:                               ;   in Loop: Header=BB1_21 Depth=3
	s_add_nc_u64 s[36:37], s[36:37], 32
	v_add_nc_u64_e32 v[26:27], 0x80, v[26:27]
	v_cmp_ge_i64_e64 s46, s[36:37], s[22:23]
	v_add_nc_u64_e32 v[30:31], 0x80, v[30:31]
	v_add_nc_u64_e32 v[24:25], s[14:15], v[24:25]
	;; [unrolled: 1-line block ×3, first 2 shown]
	s_barrier_signal -1
	s_barrier_wait -1
	s_and_b32 vcc_lo, exec_lo, s46
	s_cbranch_vccnz .LBB1_18
.LBB1_21:                               ;   Parent Loop BB1_16 Depth=1
                                        ;     Parent Loop BB1_19 Depth=2
                                        ; =>    This Inner Loop Header: Depth=3
	v_add_nc_u64_e32 v[38:39], s[36:37], v[0:1]
	s_mov_b32 s47, -1
	s_delay_alu instid0(VALU_DEP_1)
	v_cmp_gt_i64_e32 vcc_lo, s[22:23], v[38:39]
                                        ; implicit-def: $vgpr38
	s_and_b32 s46, s0, vcc_lo
	s_and_b32 vcc_lo, exec_lo, s44
	s_and_b32 s46, s46, s45
	s_cbranch_vccz .LBB1_25
; %bb.22:                               ;   in Loop: Header=BB1_21 Depth=3
	v_mov_b32_e32 v38, 0
	s_and_saveexec_b32 s47, s46
	s_cbranch_execz .LBB1_24
; %bb.23:                               ;   in Loop: Header=BB1_21 Depth=3
	global_load_b32 v38, v[24:25], off
.LBB1_24:                               ;   in Loop: Header=BB1_21 Depth=3
	s_wait_xcnt 0x0
	s_or_b32 exec_lo, exec_lo, s47
	s_mov_b32 s47, 0
.LBB1_25:                               ;   in Loop: Header=BB1_21 Depth=3
	s_delay_alu instid0(SALU_CYCLE_1)
	s_and_not1_b32 vcc_lo, exec_lo, s47
	s_cbranch_vccnz .LBB1_29
; %bb.26:                               ;   in Loop: Header=BB1_21 Depth=3
	s_wait_loadcnt 0x0
	v_mov_b32_e32 v38, 0
	s_and_saveexec_b32 s47, s46
	s_cbranch_execz .LBB1_28
; %bb.27:                               ;   in Loop: Header=BB1_21 Depth=3
	global_load_b32 v38, v[26:27], off
.LBB1_28:                               ;   in Loop: Header=BB1_21 Depth=3
	s_wait_xcnt 0x0
	s_or_b32 exec_lo, exec_lo, s47
.LBB1_29:                               ;   in Loop: Header=BB1_21 Depth=3
	v_add_nc_u64_e32 v[40:41], s[36:37], v[2:3]
	s_wait_loadcnt 0x0
	ds_store_b32 v34, v38
	v_cmp_gt_i64_e32 vcc_lo, s[22:23], v[40:41]
	s_and_b32 s46, s1, vcc_lo
	s_and_b32 vcc_lo, exec_lo, s39
	s_and_b32 s46, s46, s45
	s_cbranch_vccz .LBB1_33
; %bb.30:                               ;   in Loop: Header=BB1_21 Depth=3
	v_mov_b32_e32 v38, 0
	s_and_saveexec_b32 s47, s46
	s_cbranch_execz .LBB1_32
; %bb.31:                               ;   in Loop: Header=BB1_21 Depth=3
	global_load_b32 v38, v[28:29], off
.LBB1_32:                               ;   in Loop: Header=BB1_21 Depth=3
	s_wait_xcnt 0x0
	s_or_b32 exec_lo, exec_lo, s47
	s_cbranch_execz .LBB1_34
	s_branch .LBB1_37
.LBB1_33:                               ;   in Loop: Header=BB1_21 Depth=3
                                        ; implicit-def: $vgpr38
.LBB1_34:                               ;   in Loop: Header=BB1_21 Depth=3
	s_wait_loadcnt 0x0
	v_mov_b32_e32 v38, 0
	s_and_saveexec_b32 s47, s46
	s_cbranch_execz .LBB1_36
; %bb.35:                               ;   in Loop: Header=BB1_21 Depth=3
	global_load_b32 v38, v[30:31], off
.LBB1_36:                               ;   in Loop: Header=BB1_21 Depth=3
	s_wait_xcnt 0x0
	s_or_b32 exec_lo, exec_lo, s47
.LBB1_37:                               ;   in Loop: Header=BB1_21 Depth=3
	s_delay_alu instid0(SALU_CYCLE_1)
	s_and_not1_b32 vcc_lo, exec_lo, s45
	s_wait_loadcnt 0x0
	ds_store_b32 v33, v38
	s_wait_dscnt 0x0
	s_barrier_signal -1
	s_barrier_wait -1
	s_cbranch_vccnz .LBB1_20
; %bb.38:                               ;   in Loop: Header=BB1_21 Depth=3
	ds_load_2addr_b32 v[46:47], v6 offset1:32
	ds_load_b128 v[38:41], v32 offset:4096
	ds_load_b128 v[42:45], v32 offset:4112
	ds_load_2addr_b32 v[48:49], v6 offset0:64 offset1:96
	s_wait_dscnt 0x2
	v_mad_u32 v37, v38, v46, v37
	s_delay_alu instid0(VALU_DEP_1) | instskip(SKIP_4) | instid1(VALU_DEP_1)
	v_mad_u32 v37, v39, v47, v37
	ds_load_2addr_b32 v[38:39], v6 offset0:128 offset1:160
	ds_load_2addr_b32 v[46:47], v6 offset0:192 offset1:224
	s_wait_dscnt 0x2
	v_mad_u32 v37, v40, v48, v37
	v_mad_u32 v37, v41, v49, v37
	s_wait_dscnt 0x1
	s_delay_alu instid0(VALU_DEP_1) | instskip(NEXT) | instid1(VALU_DEP_1)
	v_mad_u32 v37, v42, v38, v37
	v_mad_u32 v37, v43, v39, v37
	ds_load_b128 v[38:41], v32 offset:4128
	ds_load_2addr_b32 v[48:49], v7 offset1:32
	s_wait_dscnt 0x2
	v_mad_u32 v37, v44, v46, v37
	s_delay_alu instid0(VALU_DEP_1) | instskip(SKIP_4) | instid1(VALU_DEP_1)
	v_mad_u32 v37, v45, v47, v37
	ds_load_2addr_b32 v[46:47], v7 offset0:64 offset1:96
	ds_load_b128 v[42:45], v32 offset:4144
	s_wait_dscnt 0x2
	v_mad_u32 v37, v38, v48, v37
	v_mad_u32 v37, v39, v49, v37
	ds_load_2addr_b32 v[38:39], v7 offset0:128 offset1:160
	s_wait_dscnt 0x2
	v_mad_u32 v37, v40, v46, v37
	s_delay_alu instid0(VALU_DEP_1) | instskip(SKIP_3) | instid1(VALU_DEP_1)
	v_mad_u32 v37, v41, v47, v37
	ds_load_2addr_b32 v[46:47], v7 offset0:192 offset1:224
	s_wait_dscnt 0x1
	v_mad_u32 v37, v42, v38, v37
	v_mad_u32 v37, v43, v39, v37
	ds_load_2addr_b32 v[48:49], v35 offset1:32
	ds_load_b128 v[38:41], v32 offset:4160
	s_wait_dscnt 0x2
	v_mad_u32 v37, v44, v46, v37
	s_delay_alu instid0(VALU_DEP_1) | instskip(SKIP_4) | instid1(VALU_DEP_1)
	v_mad_u32 v37, v45, v47, v37
	ds_load_2addr_b32 v[46:47], v35 offset0:64 offset1:96
	ds_load_b128 v[42:45], v32 offset:4176
	s_wait_dscnt 0x2
	v_mad_u32 v37, v38, v48, v37
	v_mad_u32 v37, v39, v49, v37
	ds_load_2addr_b32 v[38:39], v35 offset0:128 offset1:160
	s_wait_dscnt 0x2
	v_mad_u32 v37, v40, v46, v37
	s_delay_alu instid0(VALU_DEP_1) | instskip(SKIP_3) | instid1(VALU_DEP_1)
	v_mad_u32 v37, v41, v47, v37
	ds_load_2addr_b32 v[46:47], v35 offset0:192 offset1:224
	s_wait_dscnt 0x1
	v_mad_u32 v37, v42, v38, v37
	v_mad_u32 v37, v43, v39, v37
	ds_load_2addr_b32 v[48:49], v36 offset1:32
	ds_load_b128 v[38:41], v32 offset:4192
	s_wait_dscnt 0x2
	v_mad_u32 v37, v44, v46, v37
	s_delay_alu instid0(VALU_DEP_1) | instskip(SKIP_4) | instid1(VALU_DEP_1)
	v_mad_u32 v37, v45, v47, v37
	ds_load_2addr_b32 v[46:47], v36 offset0:64 offset1:96
	ds_load_b128 v[42:45], v32 offset:4208
	s_wait_dscnt 0x2
	v_mad_u32 v37, v38, v48, v37
	v_mad_u32 v37, v39, v49, v37
	ds_load_2addr_b32 v[38:39], v36 offset0:128 offset1:160
	s_wait_dscnt 0x2
	v_mad_u32 v37, v40, v46, v37
	s_delay_alu instid0(VALU_DEP_1) | instskip(SKIP_3) | instid1(VALU_DEP_1)
	v_mad_u32 v37, v41, v47, v37
	ds_load_2addr_b32 v[40:41], v36 offset0:192 offset1:224
	s_wait_dscnt 0x1
	v_mad_u32 v37, v42, v38, v37
	v_mad_u32 v37, v43, v39, v37
	s_wait_dscnt 0x0
	s_delay_alu instid0(VALU_DEP_1) | instskip(NEXT) | instid1(VALU_DEP_1)
	v_mad_u32 v37, v44, v40, v37
	v_mad_u32 v37, v45, v41, v37
	s_branch .LBB1_20
.LBB1_39:                               ;   in Loop: Header=BB1_16 Depth=1
	v_add_nc_u64_e32 v[22:23], s[6:7], v[18:19]
	s_and_b32 vcc_lo, exec_lo, s40
	s_mov_b32 s1, -1
                                        ; implicit-def: $vgpr20_vgpr21
	s_cbranch_vccnz .LBB1_42
; %bb.40:                               ;   in Loop: Header=BB1_16 Depth=1
	s_and_not1_b32 vcc_lo, exec_lo, s1
	s_cbranch_vccz .LBB1_43
.LBB1_41:                               ;   in Loop: Header=BB1_16 Depth=1
	v_cmp_gt_i64_e32 vcc_lo, s[22:23], v[18:19]
	s_and_b32 s34, s41, vcc_lo
	s_delay_alu instid0(SALU_CYCLE_1)
	s_and_saveexec_b32 s1, s34
	s_cbranch_execz .LBB1_15
	s_branch .LBB1_44
.LBB1_42:                               ;   in Loop: Header=BB1_16 Depth=1
	s_delay_alu instid0(VALU_DEP_1) | instskip(NEXT) | instid1(VALU_DEP_1)
	v_mad_nc_u64_u32 v[20:21], v22, s18, v[4:5]
	v_mad_u32 v21, v23, s18, v21
	s_delay_alu instid0(VALU_DEP_1)
	v_mad_u32 v21, v22, s19, v21
	s_cbranch_execnz .LBB1_41
.LBB1_43:                               ;   in Loop: Header=BB1_16 Depth=1
	s_delay_alu instid0(VALU_DEP_1) | instskip(SKIP_2) | instid1(SALU_CYCLE_1)
	v_add_nc_u64_e32 v[20:21], v[22:23], v[8:9]
	v_cmp_gt_i64_e32 vcc_lo, s[22:23], v[18:19]
	s_and_b32 s34, s41, vcc_lo
	s_and_saveexec_b32 s1, s34
	s_cbranch_execz .LBB1_15
.LBB1_44:                               ;   in Loop: Header=BB1_16 Depth=1
	v_mul_lo_u32 v22, v37, s33
	s_delay_alu instid0(VALU_DEP_3)
	v_lshl_add_u64 v[18:19], v[20:21], 2, s[16:17]
	s_and_b32 vcc_lo, exec_lo, s42
	s_cbranch_vccz .LBB1_46
; %bb.45:                               ;   in Loop: Header=BB1_16 Depth=1
	global_load_b32 v20, v[18:19], off
	s_wait_loadcnt 0x0
	v_mad_u32 v20, v20, s38, v22
	global_store_b32 v[18:19], v20, off
	s_cbranch_execnz .LBB1_15
	s_branch .LBB1_47
.LBB1_46:                               ;   in Loop: Header=BB1_16 Depth=1
.LBB1_47:                               ;   in Loop: Header=BB1_16 Depth=1
	global_store_b32 v[18:19], v22, off
	s_branch .LBB1_15
.LBB1_48:
	s_endpgm
.LBB1_49:
                                        ; implicit-def: $sgpr24_sgpr25
	s_branch .LBB1_12
	.section	.rodata,"a",@progbits
	.p2align	6, 0x0
	.amdhsa_kernel _ZN9rocsparseL30bellmm_general_blockdim_kernelILi32ELi32EiliiiEEv20rocsparse_operation_S1_20rocsparse_direction_T2_S3_NS_24const_host_device_scalarIT1_EES3_S3_PKS3_PKT3_PKT4_l16rocsparse_order_S6_PT5_lSF_21rocsparse_index_base_b
		.amdhsa_group_segment_fixed_size 8192
		.amdhsa_private_segment_fixed_size 0
		.amdhsa_kernarg_size 132
		.amdhsa_user_sgpr_count 2
		.amdhsa_user_sgpr_dispatch_ptr 0
		.amdhsa_user_sgpr_queue_ptr 0
		.amdhsa_user_sgpr_kernarg_segment_ptr 1
		.amdhsa_user_sgpr_dispatch_id 0
		.amdhsa_user_sgpr_kernarg_preload_length 0
		.amdhsa_user_sgpr_kernarg_preload_offset 0
		.amdhsa_user_sgpr_private_segment_size 0
		.amdhsa_wavefront_size32 1
		.amdhsa_uses_dynamic_stack 0
		.amdhsa_enable_private_segment 0
		.amdhsa_system_sgpr_workgroup_id_x 1
		.amdhsa_system_sgpr_workgroup_id_y 1
		.amdhsa_system_sgpr_workgroup_id_z 0
		.amdhsa_system_sgpr_workgroup_info 0
		.amdhsa_system_vgpr_workitem_id 1
		.amdhsa_next_free_vgpr 50
		.amdhsa_next_free_sgpr 48
		.amdhsa_named_barrier_count 0
		.amdhsa_reserve_vcc 1
		.amdhsa_float_round_mode_32 0
		.amdhsa_float_round_mode_16_64 0
		.amdhsa_float_denorm_mode_32 3
		.amdhsa_float_denorm_mode_16_64 3
		.amdhsa_fp16_overflow 0
		.amdhsa_memory_ordered 1
		.amdhsa_forward_progress 1
		.amdhsa_inst_pref_size 22
		.amdhsa_round_robin_scheduling 0
		.amdhsa_exception_fp_ieee_invalid_op 0
		.amdhsa_exception_fp_denorm_src 0
		.amdhsa_exception_fp_ieee_div_zero 0
		.amdhsa_exception_fp_ieee_overflow 0
		.amdhsa_exception_fp_ieee_underflow 0
		.amdhsa_exception_fp_ieee_inexact 0
		.amdhsa_exception_int_div_zero 0
	.end_amdhsa_kernel
	.section	.text._ZN9rocsparseL30bellmm_general_blockdim_kernelILi32ELi32EiliiiEEv20rocsparse_operation_S1_20rocsparse_direction_T2_S3_NS_24const_host_device_scalarIT1_EES3_S3_PKS3_PKT3_PKT4_l16rocsparse_order_S6_PT5_lSF_21rocsparse_index_base_b,"axG",@progbits,_ZN9rocsparseL30bellmm_general_blockdim_kernelILi32ELi32EiliiiEEv20rocsparse_operation_S1_20rocsparse_direction_T2_S3_NS_24const_host_device_scalarIT1_EES3_S3_PKS3_PKT3_PKT4_l16rocsparse_order_S6_PT5_lSF_21rocsparse_index_base_b,comdat
.Lfunc_end1:
	.size	_ZN9rocsparseL30bellmm_general_blockdim_kernelILi32ELi32EiliiiEEv20rocsparse_operation_S1_20rocsparse_direction_T2_S3_NS_24const_host_device_scalarIT1_EES3_S3_PKS3_PKT3_PKT4_l16rocsparse_order_S6_PT5_lSF_21rocsparse_index_base_b, .Lfunc_end1-_ZN9rocsparseL30bellmm_general_blockdim_kernelILi32ELi32EiliiiEEv20rocsparse_operation_S1_20rocsparse_direction_T2_S3_NS_24const_host_device_scalarIT1_EES3_S3_PKS3_PKT3_PKT4_l16rocsparse_order_S6_PT5_lSF_21rocsparse_index_base_b
                                        ; -- End function
	.set _ZN9rocsparseL30bellmm_general_blockdim_kernelILi32ELi32EiliiiEEv20rocsparse_operation_S1_20rocsparse_direction_T2_S3_NS_24const_host_device_scalarIT1_EES3_S3_PKS3_PKT3_PKT4_l16rocsparse_order_S6_PT5_lSF_21rocsparse_index_base_b.num_vgpr, 50
	.set _ZN9rocsparseL30bellmm_general_blockdim_kernelILi32ELi32EiliiiEEv20rocsparse_operation_S1_20rocsparse_direction_T2_S3_NS_24const_host_device_scalarIT1_EES3_S3_PKS3_PKT3_PKT4_l16rocsparse_order_S6_PT5_lSF_21rocsparse_index_base_b.num_agpr, 0
	.set _ZN9rocsparseL30bellmm_general_blockdim_kernelILi32ELi32EiliiiEEv20rocsparse_operation_S1_20rocsparse_direction_T2_S3_NS_24const_host_device_scalarIT1_EES3_S3_PKS3_PKT3_PKT4_l16rocsparse_order_S6_PT5_lSF_21rocsparse_index_base_b.numbered_sgpr, 48
	.set _ZN9rocsparseL30bellmm_general_blockdim_kernelILi32ELi32EiliiiEEv20rocsparse_operation_S1_20rocsparse_direction_T2_S3_NS_24const_host_device_scalarIT1_EES3_S3_PKS3_PKT3_PKT4_l16rocsparse_order_S6_PT5_lSF_21rocsparse_index_base_b.num_named_barrier, 0
	.set _ZN9rocsparseL30bellmm_general_blockdim_kernelILi32ELi32EiliiiEEv20rocsparse_operation_S1_20rocsparse_direction_T2_S3_NS_24const_host_device_scalarIT1_EES3_S3_PKS3_PKT3_PKT4_l16rocsparse_order_S6_PT5_lSF_21rocsparse_index_base_b.private_seg_size, 0
	.set _ZN9rocsparseL30bellmm_general_blockdim_kernelILi32ELi32EiliiiEEv20rocsparse_operation_S1_20rocsparse_direction_T2_S3_NS_24const_host_device_scalarIT1_EES3_S3_PKS3_PKT3_PKT4_l16rocsparse_order_S6_PT5_lSF_21rocsparse_index_base_b.uses_vcc, 1
	.set _ZN9rocsparseL30bellmm_general_blockdim_kernelILi32ELi32EiliiiEEv20rocsparse_operation_S1_20rocsparse_direction_T2_S3_NS_24const_host_device_scalarIT1_EES3_S3_PKS3_PKT3_PKT4_l16rocsparse_order_S6_PT5_lSF_21rocsparse_index_base_b.uses_flat_scratch, 0
	.set _ZN9rocsparseL30bellmm_general_blockdim_kernelILi32ELi32EiliiiEEv20rocsparse_operation_S1_20rocsparse_direction_T2_S3_NS_24const_host_device_scalarIT1_EES3_S3_PKS3_PKT3_PKT4_l16rocsparse_order_S6_PT5_lSF_21rocsparse_index_base_b.has_dyn_sized_stack, 0
	.set _ZN9rocsparseL30bellmm_general_blockdim_kernelILi32ELi32EiliiiEEv20rocsparse_operation_S1_20rocsparse_direction_T2_S3_NS_24const_host_device_scalarIT1_EES3_S3_PKS3_PKT3_PKT4_l16rocsparse_order_S6_PT5_lSF_21rocsparse_index_base_b.has_recursion, 0
	.set _ZN9rocsparseL30bellmm_general_blockdim_kernelILi32ELi32EiliiiEEv20rocsparse_operation_S1_20rocsparse_direction_T2_S3_NS_24const_host_device_scalarIT1_EES3_S3_PKS3_PKT3_PKT4_l16rocsparse_order_S6_PT5_lSF_21rocsparse_index_base_b.has_indirect_call, 0
	.section	.AMDGPU.csdata,"",@progbits
; Kernel info:
; codeLenInByte = 2692
; TotalNumSgprs: 50
; NumVgprs: 50
; ScratchSize: 0
; MemoryBound: 0
; FloatMode: 240
; IeeeMode: 1
; LDSByteSize: 8192 bytes/workgroup (compile time only)
; SGPRBlocks: 0
; VGPRBlocks: 3
; NumSGPRsForWavesPerEU: 50
; NumVGPRsForWavesPerEU: 50
; NamedBarCnt: 0
; Occupancy: 16
; WaveLimiterHint : 1
; COMPUTE_PGM_RSRC2:SCRATCH_EN: 0
; COMPUTE_PGM_RSRC2:USER_SGPR: 2
; COMPUTE_PGM_RSRC2:TRAP_HANDLER: 0
; COMPUTE_PGM_RSRC2:TGID_X_EN: 1
; COMPUTE_PGM_RSRC2:TGID_Y_EN: 1
; COMPUTE_PGM_RSRC2:TGID_Z_EN: 0
; COMPUTE_PGM_RSRC2:TIDIG_COMP_CNT: 1
	.section	.text._ZN9rocsparseL30bellmm_general_blockdim_kernelILi32ELi32EfifffEEv20rocsparse_operation_S1_20rocsparse_direction_T2_S3_NS_24const_host_device_scalarIT1_EES3_S3_PKS3_PKT3_PKT4_l16rocsparse_order_S6_PT5_lSF_21rocsparse_index_base_b,"axG",@progbits,_ZN9rocsparseL30bellmm_general_blockdim_kernelILi32ELi32EfifffEEv20rocsparse_operation_S1_20rocsparse_direction_T2_S3_NS_24const_host_device_scalarIT1_EES3_S3_PKS3_PKT3_PKT4_l16rocsparse_order_S6_PT5_lSF_21rocsparse_index_base_b,comdat
	.globl	_ZN9rocsparseL30bellmm_general_blockdim_kernelILi32ELi32EfifffEEv20rocsparse_operation_S1_20rocsparse_direction_T2_S3_NS_24const_host_device_scalarIT1_EES3_S3_PKS3_PKT3_PKT4_l16rocsparse_order_S6_PT5_lSF_21rocsparse_index_base_b ; -- Begin function _ZN9rocsparseL30bellmm_general_blockdim_kernelILi32ELi32EfifffEEv20rocsparse_operation_S1_20rocsparse_direction_T2_S3_NS_24const_host_device_scalarIT1_EES3_S3_PKS3_PKT3_PKT4_l16rocsparse_order_S6_PT5_lSF_21rocsparse_index_base_b
	.p2align	8
	.type	_ZN9rocsparseL30bellmm_general_blockdim_kernelILi32ELi32EfifffEEv20rocsparse_operation_S1_20rocsparse_direction_T2_S3_NS_24const_host_device_scalarIT1_EES3_S3_PKS3_PKT3_PKT4_l16rocsparse_order_S6_PT5_lSF_21rocsparse_index_base_b,@function
_ZN9rocsparseL30bellmm_general_blockdim_kernelILi32ELi32EfifffEEv20rocsparse_operation_S1_20rocsparse_direction_T2_S3_NS_24const_host_device_scalarIT1_EES3_S3_PKS3_PKT3_PKT4_l16rocsparse_order_S6_PT5_lSF_21rocsparse_index_base_b: ; @_ZN9rocsparseL30bellmm_general_blockdim_kernelILi32ELi32EfifffEEv20rocsparse_operation_S1_20rocsparse_direction_T2_S3_NS_24const_host_device_scalarIT1_EES3_S3_PKS3_PKT3_PKT4_l16rocsparse_order_S6_PT5_lSF_21rocsparse_index_base_b
; %bb.0:
	s_clause 0x2
	s_load_b96 s[20:22], s[0:1], 0x68
	s_load_b64 s[2:3], s[0:1], 0x18
	s_load_b64 s[24:25], s[0:1], 0x50
	s_wait_kmcnt 0x0
	s_bitcmp1_b32 s22, 0
	s_cselect_b32 s4, -1, 0
	s_delay_alu instid0(SALU_CYCLE_1)
	s_and_b32 vcc_lo, exec_lo, s4
	s_xor_b32 s4, s4, -1
	s_cbranch_vccnz .LBB2_2
; %bb.1:
	s_load_b32 s2, s[2:3], 0x0
.LBB2_2:
	s_and_not1_b32 vcc_lo, exec_lo, s4
	s_cbranch_vccnz .LBB2_4
; %bb.3:
	s_load_b32 s24, s[24:25], 0x0
.LBB2_4:
	s_wait_kmcnt 0x0
	s_cmp_eq_f32 s2, 0
	s_mov_b32 s25, 0
	s_cselect_b32 s3, -1, 0
	s_cmp_eq_f32 s24, 1.0
	s_cselect_b32 s4, -1, 0
	s_delay_alu instid0(SALU_CYCLE_1) | instskip(NEXT) | instid1(SALU_CYCLE_1)
	s_and_b32 s3, s3, s4
	s_and_b32 vcc_lo, exec_lo, s3
	s_cbranch_vccnz .LBB2_44
; %bb.5:
	s_clause 0x1
	s_load_b128 s[12:15], s[0:1], 0x4
	s_load_b64 s[22:23], s[0:1], 0x20
	s_bfe_u32 s3, ttmp6, 0x4000c
	s_and_b32 s4, ttmp6, 15
	s_add_co_i32 s3, s3, 1
	s_getreg_b32 s26, hwreg(HW_REG_IB_STS2, 6, 4)
	s_mul_i32 s3, ttmp9, s3
	s_delay_alu instid0(SALU_CYCLE_1)
	s_add_co_i32 s4, s4, s3
	s_cmp_eq_u32 s26, 0
	s_cselect_b32 s3, ttmp9, s4
	s_wait_kmcnt 0x0
	s_cmp_lt_i32 s3, s14
	s_cselect_b32 s28, -1, 0
	s_cmp_ge_i32 s3, s14
	s_cbranch_scc1 .LBB2_7
; %bb.6:
	s_abs_i32 s4, s23
	s_abs_i32 s7, s22
	s_cvt_f32_u32 s5, s4
	s_sub_co_i32 s6, 0, s4
	s_delay_alu instid0(SALU_CYCLE_2) | instskip(SKIP_1) | instid1(TRANS32_DEP_1)
	v_rcp_iflag_f32_e32 v1, s5
	v_nop
	v_readfirstlane_b32 s5, v1
	s_mul_f32 s5, s5, 0x4f7ffffe
	s_delay_alu instid0(SALU_CYCLE_3) | instskip(NEXT) | instid1(SALU_CYCLE_3)
	s_cvt_u32_f32 s5, s5
	s_mul_i32 s6, s6, s5
	s_delay_alu instid0(SALU_CYCLE_1) | instskip(NEXT) | instid1(SALU_CYCLE_1)
	s_mul_hi_u32 s6, s5, s6
	s_add_co_i32 s5, s5, s6
	s_xor_b32 s6, s22, s23
	s_mul_hi_u32 s5, s7, s5
	s_ashr_i32 s6, s6, 31
	s_mul_i32 s8, s5, s4
	s_delay_alu instid0(SALU_CYCLE_1)
	s_sub_co_i32 s7, s7, s8
	s_add_co_i32 s8, s5, 1
	s_sub_co_i32 s9, s7, s4
	s_cmp_ge_u32 s7, s4
	s_cselect_b32 s5, s8, s5
	s_cselect_b32 s7, s9, s7
	s_add_co_i32 s8, s5, 1
	s_cmp_ge_u32 s7, s4
	s_cselect_b32 s4, s8, s5
	s_delay_alu instid0(SALU_CYCLE_1) | instskip(NEXT) | instid1(SALU_CYCLE_1)
	s_xor_b32 s4, s4, s6
	s_sub_co_i32 s25, s4, s6
.LBB2_7:
	s_cmp_lt_i32 s23, 1
	s_cbranch_scc1 .LBB2_44
; %bb.8:
	s_bfe_u32 s16, ttmp6, 0x40010
	s_load_b256 s[4:11], s[0:1], 0x28
	s_add_co_i32 s22, s16, 1
	s_bfe_u32 s27, ttmp6, 0x40004
	s_mul_i32 s22, ttmp7, s22
	s_load_b128 s[16:19], s[0:1], 0x58
	v_bfe_u32 v14, v0, 10, 10
	s_add_co_i32 s27, s27, s22
	s_cmp_eq_u32 s26, 0
	v_and_b32_e32 v15, 0x3ff, v0
	s_cselect_b32 s22, ttmp7, s27
	s_wait_xcnt 0x0
	s_load_b32 s0, s[0:1], 0x48
	v_lshl_add_u32 v2, s22, 5, v14
	s_cmp_gt_i32 s25, 0
	s_mul_i32 s26, s23, s3
	s_cselect_b32 s27, -1, 0
	s_delay_alu instid0(VALU_DEP_1)
	v_dual_lshlrev_b32 v16, 2, v15 :: v_dual_ashrrev_i32 v3, 31, v2
	s_cmp_eq_u32 s12, 0x6f
	v_dual_mov_b32 v5, 0 :: v_dual_add_nc_u32 v4, s26, v14
	s_cselect_b32 s29, -1, 0
	s_wait_kmcnt 0x0
	v_mul_u64_e32 v[8:9], s[10:11], v[2:3]
	v_lshlrev_b32_e32 v17, 7, v14
	v_mul_lo_u32 v18, s23, v4
	v_mul_u64_e32 v[0:1], s[18:19], v[2:3]
	v_or_b32_e32 v6, 0x1000, v16
	v_add_nc_u32_e32 v20, 0x400, v16
	v_add_nc_u32_e32 v19, v16, v17
	v_add_nc_u32_e32 v21, 0x800, v16
	v_add_nc_u32_e32 v23, 0xc00, v16
	s_cmp_lg_u32 s0, 1
	v_cmp_gt_i32_e64 s0, s15, v2
	s_cselect_b32 s30, -1, 0
	s_cmp_lg_u32 s13, 0
	v_add_nc_u32_e32 v22, v6, v17
	s_cselect_b32 s12, -1, 0
	s_cmp_lg_u32 s20, 1
	v_lshl_add_u64 v[6:7], v[2:3], 2, s[8:9]
	s_cselect_b32 s13, -1, 0
	s_and_b32 s15, s28, s0
	s_cmp_neq_f32 s24, 0
	s_mul_i32 s1, s23, s23
	s_mov_b32 s22, 0
	s_cselect_b32 s20, -1, 0
	s_xor_b32 s28, s29, s30
	v_lshl_add_u64 v[8:9], v[8:9], 2, s[8:9]
	s_xor_b32 s8, s28, -1
	s_mul_i32 s9, s1, s14
	s_lshl_b32 s28, s23, 5
	s_branch .LBB2_10
.LBB2_9:                                ;   in Loop: Header=BB2_10 Depth=1
	s_wait_xcnt 0x0
	s_or_b32 exec_lo, exec_lo, s1
	v_add_nc_u32_e32 v18, 32, v18
	s_add_co_i32 s22, s22, 32
	s_delay_alu instid0(SALU_CYCLE_1)
	s_cmp_lt_i32 s22, s23
	s_cbranch_scc0 .LBB2_44
.LBB2_10:                               ; =>This Loop Header: Depth=1
                                        ;     Child Loop BB2_13 Depth 2
                                        ;       Child Loop BB2_15 Depth 3
	v_dual_mov_b32 v24, v5 :: v_dual_add_nc_u32 v25, s22, v15
	s_and_not1_b32 vcc_lo, exec_lo, s27
	s_delay_alu instid0(VALU_DEP_1)
	v_cmp_gt_i32_e64 s1, s23, v25
	s_cbranch_vccnz .LBB2_35
; %bb.11:                               ;   in Loop: Header=BB2_10 Depth=1
	v_dual_mov_b32 v24, 0 :: v_dual_mov_b32 v10, v18
	s_mov_b32 s29, 0
	s_branch .LBB2_13
.LBB2_12:                               ;   in Loop: Header=BB2_13 Depth=2
	v_add_nc_u32_e32 v10, s9, v10
	s_add_co_i32 s29, s29, 1
	s_delay_alu instid0(SALU_CYCLE_1)
	s_cmp_eq_u32 s29, s25
	s_cbranch_scc1 .LBB2_35
.LBB2_13:                               ;   Parent Loop BB2_10 Depth=1
                                        ; =>  This Loop Header: Depth=2
                                        ;       Child Loop BB2_15 Depth 3
	s_mul_i32 s30, s29, s14
	s_delay_alu instid0(VALU_DEP_1)
	v_add_nc_u32_e32 v13, v15, v10
	s_add_co_i32 s30, s30, s3
	s_mov_b32 s33, 0
	s_ashr_i32 s31, s30, 31
	v_mad_u32 v4, s30, s23, v25
	s_lshl_b64 s[34:35], s[30:31], 2
	s_delay_alu instid0(SALU_CYCLE_1) | instskip(SKIP_1) | instid1(VALU_DEP_1)
	s_add_nc_u64 s[34:35], s[4:5], s[34:35]
	s_load_b32 s31, s[34:35], 0x0
	v_mul_lo_u32 v11, v4, s23
	s_wait_kmcnt 0x0
	s_sub_co_i32 s30, s31, s21
	s_mov_b32 s31, 0
	v_mad_u32 v12, s30, s23, v15
	s_cmp_gt_i32 s30, -1
	s_cselect_b32 s30, -1, 0
	s_branch .LBB2_15
.LBB2_14:                               ;   in Loop: Header=BB2_15 Depth=3
	s_add_co_i32 s33, s33, 32
	s_add_co_i32 s31, s31, s28
	s_cmp_ge_i32 s33, s23
	s_barrier_signal -1
	s_barrier_wait -1
	s_cbranch_scc1 .LBB2_12
.LBB2_15:                               ;   Parent Loop BB2_10 Depth=1
                                        ;     Parent Loop BB2_13 Depth=2
                                        ; =>    This Inner Loop Header: Depth=3
	v_add_nc_u32_e32 v4, s33, v15
	s_wait_xcnt 0x0
	s_mov_b32 s35, -1
	s_delay_alu instid0(VALU_DEP_1)
	v_cmp_gt_i32_e32 vcc_lo, s23, v4
                                        ; implicit-def: $vgpr4
	s_and_b32 s34, s0, vcc_lo
	s_and_b32 vcc_lo, exec_lo, s8
	s_and_b32 s34, s34, s30
	s_cbranch_vccz .LBB2_19
; %bb.16:                               ;   in Loop: Header=BB2_15 Depth=3
	v_mov_b32_e32 v4, 0
	s_and_saveexec_b32 s35, s34
	s_cbranch_execz .LBB2_18
; %bb.17:                               ;   in Loop: Header=BB2_15 Depth=3
	v_add_nc_u32_e32 v4, s33, v12
	s_delay_alu instid0(VALU_DEP_1) | instskip(NEXT) | instid1(VALU_DEP_1)
	v_mul_u64_e32 v[26:27], s[10:11], v[4:5]
	v_lshl_add_u64 v[26:27], v[26:27], 2, v[6:7]
	global_load_b32 v4, v[26:27], off
.LBB2_18:                               ;   in Loop: Header=BB2_15 Depth=3
	s_wait_xcnt 0x0
	s_or_b32 exec_lo, exec_lo, s35
	s_mov_b32 s35, 0
.LBB2_19:                               ;   in Loop: Header=BB2_15 Depth=3
	s_delay_alu instid0(SALU_CYCLE_1)
	s_and_not1_b32 vcc_lo, exec_lo, s35
	s_cbranch_vccnz .LBB2_23
; %bb.20:                               ;   in Loop: Header=BB2_15 Depth=3
	s_wait_loadcnt 0x0
	v_mov_b32_e32 v4, 0
	s_and_saveexec_b32 s35, s34
	s_cbranch_execz .LBB2_22
; %bb.21:                               ;   in Loop: Header=BB2_15 Depth=3
	v_add_nc_u32_e32 v4, s33, v12
	s_delay_alu instid0(VALU_DEP_1)
	v_lshl_add_u64 v[26:27], v[4:5], 2, v[8:9]
	global_load_b32 v4, v[26:27], off
.LBB2_22:                               ;   in Loop: Header=BB2_15 Depth=3
	s_wait_xcnt 0x0
	s_or_b32 exec_lo, exec_lo, s35
.LBB2_23:                               ;   in Loop: Header=BB2_15 Depth=3
	v_add_nc_u32_e32 v26, s33, v14
	s_wait_loadcnt 0x0
	ds_store_b32 v22, v4
	v_cmp_gt_i32_e32 vcc_lo, s23, v26
	s_and_b32 s34, s1, vcc_lo
	s_and_b32 vcc_lo, exec_lo, s12
	s_and_b32 s35, s34, s30
	s_cbranch_vccz .LBB2_31
; %bb.24:                               ;   in Loop: Header=BB2_15 Depth=3
	s_mov_b32 s36, 0
	s_mov_b32 s34, 0
                                        ; implicit-def: $vgpr4
	s_and_saveexec_b32 s37, s35
	s_delay_alu instid0(SALU_CYCLE_1)
	s_xor_b32 s37, exec_lo, s37
; %bb.25:                               ;   in Loop: Header=BB2_15 Depth=3
	s_mov_b32 s34, exec_lo
	v_add_nc_u32_e32 v4, s31, v13
; %bb.26:                               ;   in Loop: Header=BB2_15 Depth=3
	s_or_b32 exec_lo, exec_lo, s37
	s_delay_alu instid0(SALU_CYCLE_1)
	s_and_b32 vcc_lo, exec_lo, s36
	s_cbranch_vccnz .LBB2_32
.LBB2_27:                               ;   in Loop: Header=BB2_15 Depth=3
	v_mov_b32_e32 v26, 0
	s_and_saveexec_b32 s35, s34
	s_cbranch_execz .LBB2_29
.LBB2_28:                               ;   in Loop: Header=BB2_15 Depth=3
	global_load_b32 v26, v4, s[6:7] scale_offset
.LBB2_29:                               ;   in Loop: Header=BB2_15 Depth=3
	s_wait_xcnt 0x0
	s_or_b32 exec_lo, exec_lo, s35
	s_delay_alu instid0(SALU_CYCLE_1)
	s_and_not1_b32 vcc_lo, exec_lo, s30
	s_wait_loadcnt 0x0
	ds_store_b32 v19, v26
	s_wait_dscnt 0x0
	s_barrier_signal -1
	s_barrier_wait -1
	s_cbranch_vccnz .LBB2_14
; %bb.30:                               ;   in Loop: Header=BB2_15 Depth=3
	ds_load_2addr_b32 v[34:35], v16 offset1:32
	ds_load_b128 v[26:29], v17 offset:4096
	ds_load_2addr_b32 v[36:37], v16 offset0:64 offset1:96
	ds_load_b128 v[30:33], v17 offset:4112
	ds_load_2addr_b32 v[38:39], v16 offset0:128 offset1:160
	s_wait_dscnt 0x3
	v_fmac_f32_e32 v24, v34, v26
	s_delay_alu instid0(VALU_DEP_1) | instskip(SKIP_3) | instid1(VALU_DEP_1)
	v_fmac_f32_e32 v24, v35, v27
	ds_load_2addr_b32 v[34:35], v16 offset0:192 offset1:224
	s_wait_dscnt 0x3
	v_fmac_f32_e32 v24, v36, v28
	v_fmac_f32_e32 v24, v37, v29
	ds_load_b128 v[26:29], v17 offset:4128
	ds_load_2addr_b32 v[36:37], v20 offset1:32
	s_wait_dscnt 0x3
	v_fmac_f32_e32 v24, v38, v30
	s_delay_alu instid0(VALU_DEP_1) | instskip(SKIP_3) | instid1(VALU_DEP_1)
	v_fmac_f32_e32 v24, v39, v31
	ds_load_2addr_b32 v[38:39], v20 offset0:64 offset1:96
	s_wait_dscnt 0x3
	v_fmac_f32_e32 v24, v34, v32
	v_fmac_f32_e32 v24, v35, v33
	ds_load_b128 v[30:33], v17 offset:4144
	ds_load_2addr_b32 v[34:35], v20 offset0:128 offset1:160
	s_wait_dscnt 0x3
	v_fmac_f32_e32 v24, v36, v26
	s_delay_alu instid0(VALU_DEP_1) | instskip(SKIP_3) | instid1(VALU_DEP_1)
	v_fmac_f32_e32 v24, v37, v27
	ds_load_2addr_b32 v[36:37], v20 offset0:192 offset1:224
	s_wait_dscnt 0x3
	v_fmac_f32_e32 v24, v38, v28
	v_fmac_f32_e32 v24, v39, v29
	ds_load_2addr_b32 v[38:39], v21 offset1:32
	ds_load_b128 v[26:29], v17 offset:4160
	s_wait_dscnt 0x3
	v_fmac_f32_e32 v24, v34, v30
	s_delay_alu instid0(VALU_DEP_1) | instskip(SKIP_3) | instid1(VALU_DEP_1)
	v_fmac_f32_e32 v24, v35, v31
	ds_load_2addr_b32 v[34:35], v21 offset0:64 offset1:96
	s_wait_dscnt 0x3
	v_fmac_f32_e32 v24, v36, v32
	v_fmac_f32_e32 v24, v37, v33
	ds_load_2addr_b32 v[36:37], v21 offset0:128 offset1:160
	ds_load_b128 v[30:33], v17 offset:4176
	s_wait_dscnt 0x3
	v_fmac_f32_e32 v24, v38, v26
	s_delay_alu instid0(VALU_DEP_1) | instskip(SKIP_3) | instid1(VALU_DEP_1)
	v_fmac_f32_e32 v24, v39, v27
	ds_load_2addr_b32 v[38:39], v21 offset0:192 offset1:224
	s_wait_dscnt 0x3
	v_fmac_f32_e32 v24, v34, v28
	v_fmac_f32_e32 v24, v35, v29
	ds_load_2addr_b32 v[34:35], v23 offset1:32
	ds_load_b128 v[26:29], v17 offset:4192
	s_wait_dscnt 0x3
	v_fmac_f32_e32 v24, v36, v30
	s_delay_alu instid0(VALU_DEP_1) | instskip(SKIP_3) | instid1(VALU_DEP_1)
	v_fmac_f32_e32 v24, v37, v31
	ds_load_2addr_b32 v[36:37], v23 offset0:64 offset1:96
	s_wait_dscnt 0x3
	v_fmac_f32_e32 v24, v38, v32
	v_fmac_f32_e32 v24, v39, v33
	ds_load_b128 v[30:33], v17 offset:4208
	ds_load_2addr_b32 v[38:39], v23 offset0:128 offset1:160
	s_wait_dscnt 0x3
	v_fmac_f32_e32 v24, v34, v26
	s_delay_alu instid0(VALU_DEP_1) | instskip(SKIP_3) | instid1(VALU_DEP_1)
	v_fmac_f32_e32 v24, v35, v27
	ds_load_2addr_b32 v[26:27], v23 offset0:192 offset1:224
	s_wait_dscnt 0x3
	v_fmac_f32_e32 v24, v36, v28
	v_fmac_f32_e32 v24, v37, v29
	s_wait_dscnt 0x1
	s_delay_alu instid0(VALU_DEP_1) | instskip(NEXT) | instid1(VALU_DEP_1)
	v_fmac_f32_e32 v24, v38, v30
	v_fmac_f32_e32 v24, v39, v31
	s_wait_dscnt 0x0
	s_delay_alu instid0(VALU_DEP_1) | instskip(NEXT) | instid1(VALU_DEP_1)
	v_fmac_f32_e32 v24, v26, v32
	v_fmac_f32_e32 v24, v27, v33
	s_branch .LBB2_14
.LBB2_31:                               ;   in Loop: Header=BB2_15 Depth=3
	s_mov_b32 s34, 0
                                        ; implicit-def: $vgpr4
	s_cbranch_execz .LBB2_27
.LBB2_32:                               ;   in Loop: Header=BB2_15 Depth=3
                                        ; implicit-def: $vgpr4
	s_and_saveexec_b32 s36, s35
; %bb.33:                               ;   in Loop: Header=BB2_15 Depth=3
	v_add_nc_u32_e32 v4, v26, v11
	s_or_b32 s34, s34, exec_lo
; %bb.34:                               ;   in Loop: Header=BB2_15 Depth=3
	s_or_b32 exec_lo, exec_lo, s36
	v_mov_b32_e32 v26, 0
	s_and_saveexec_b32 s35, s34
	s_cbranch_execnz .LBB2_28
	s_branch .LBB2_29
.LBB2_35:                               ;   in Loop: Header=BB2_10 Depth=1
	v_add_nc_u32_e32 v12, s26, v25
	s_and_b32 vcc_lo, exec_lo, s13
	s_mov_b32 s1, -1
                                        ; implicit-def: $vgpr10_vgpr11
	s_delay_alu instid0(VALU_DEP_1)
	v_ashrrev_i32_e32 v13, 31, v12
	s_cbranch_vccnz .LBB2_38
; %bb.36:                               ;   in Loop: Header=BB2_10 Depth=1
	s_and_not1_b32 vcc_lo, exec_lo, s1
	s_cbranch_vccz .LBB2_39
.LBB2_37:                               ;   in Loop: Header=BB2_10 Depth=1
	v_cmp_gt_i32_e32 vcc_lo, s23, v25
	s_and_b32 s29, s15, vcc_lo
	s_delay_alu instid0(SALU_CYCLE_1)
	s_and_saveexec_b32 s1, s29
	s_cbranch_execz .LBB2_9
	s_branch .LBB2_40
.LBB2_38:                               ;   in Loop: Header=BB2_10 Depth=1
	v_mad_nc_u64_u32 v[10:11], s18, v12, v[2:3]
	s_delay_alu instid0(VALU_DEP_1) | instskip(NEXT) | instid1(VALU_DEP_1)
	v_mad_u32 v4, s19, v12, v11
	v_mad_u32 v11, s18, v13, v4
	s_cbranch_execnz .LBB2_37
.LBB2_39:                               ;   in Loop: Header=BB2_10 Depth=1
	s_delay_alu instid0(VALU_DEP_1) | instskip(SKIP_2) | instid1(SALU_CYCLE_1)
	v_add_nc_u64_e32 v[10:11], v[0:1], v[12:13]
	v_cmp_gt_i32_e32 vcc_lo, s23, v25
	s_and_b32 s29, s15, vcc_lo
	s_and_saveexec_b32 s1, s29
	s_cbranch_execz .LBB2_9
.LBB2_40:                               ;   in Loop: Header=BB2_10 Depth=1
	s_delay_alu instid0(VALU_DEP_2)
	v_lshl_add_u64 v[10:11], v[10:11], 2, s[16:17]
	v_mul_f32_e32 v4, s2, v24
	s_and_b32 vcc_lo, exec_lo, s20
	s_cbranch_vccz .LBB2_42
; %bb.41:                               ;   in Loop: Header=BB2_10 Depth=1
	global_load_b32 v12, v[10:11], off
	s_wait_loadcnt 0x0
	v_fma_f32 v12, s24, v12, v4
	global_store_b32 v[10:11], v12, off
	s_cbranch_execnz .LBB2_9
	s_branch .LBB2_43
.LBB2_42:                               ;   in Loop: Header=BB2_10 Depth=1
.LBB2_43:                               ;   in Loop: Header=BB2_10 Depth=1
	global_store_b32 v[10:11], v4, off
	s_branch .LBB2_9
.LBB2_44:
	s_endpgm
	.section	.rodata,"a",@progbits
	.p2align	6, 0x0
	.amdhsa_kernel _ZN9rocsparseL30bellmm_general_blockdim_kernelILi32ELi32EfifffEEv20rocsparse_operation_S1_20rocsparse_direction_T2_S3_NS_24const_host_device_scalarIT1_EES3_S3_PKS3_PKT3_PKT4_l16rocsparse_order_S6_PT5_lSF_21rocsparse_index_base_b
		.amdhsa_group_segment_fixed_size 8192
		.amdhsa_private_segment_fixed_size 0
		.amdhsa_kernarg_size 116
		.amdhsa_user_sgpr_count 2
		.amdhsa_user_sgpr_dispatch_ptr 0
		.amdhsa_user_sgpr_queue_ptr 0
		.amdhsa_user_sgpr_kernarg_segment_ptr 1
		.amdhsa_user_sgpr_dispatch_id 0
		.amdhsa_user_sgpr_kernarg_preload_length 0
		.amdhsa_user_sgpr_kernarg_preload_offset 0
		.amdhsa_user_sgpr_private_segment_size 0
		.amdhsa_wavefront_size32 1
		.amdhsa_uses_dynamic_stack 0
		.amdhsa_enable_private_segment 0
		.amdhsa_system_sgpr_workgroup_id_x 1
		.amdhsa_system_sgpr_workgroup_id_y 1
		.amdhsa_system_sgpr_workgroup_id_z 0
		.amdhsa_system_sgpr_workgroup_info 0
		.amdhsa_system_vgpr_workitem_id 1
		.amdhsa_next_free_vgpr 40
		.amdhsa_next_free_sgpr 38
		.amdhsa_named_barrier_count 0
		.amdhsa_reserve_vcc 1
		.amdhsa_float_round_mode_32 0
		.amdhsa_float_round_mode_16_64 0
		.amdhsa_float_denorm_mode_32 3
		.amdhsa_float_denorm_mode_16_64 3
		.amdhsa_fp16_overflow 0
		.amdhsa_memory_ordered 1
		.amdhsa_forward_progress 1
		.amdhsa_inst_pref_size 15
		.amdhsa_round_robin_scheduling 0
		.amdhsa_exception_fp_ieee_invalid_op 0
		.amdhsa_exception_fp_denorm_src 0
		.amdhsa_exception_fp_ieee_div_zero 0
		.amdhsa_exception_fp_ieee_overflow 0
		.amdhsa_exception_fp_ieee_underflow 0
		.amdhsa_exception_fp_ieee_inexact 0
		.amdhsa_exception_int_div_zero 0
	.end_amdhsa_kernel
	.section	.text._ZN9rocsparseL30bellmm_general_blockdim_kernelILi32ELi32EfifffEEv20rocsparse_operation_S1_20rocsparse_direction_T2_S3_NS_24const_host_device_scalarIT1_EES3_S3_PKS3_PKT3_PKT4_l16rocsparse_order_S6_PT5_lSF_21rocsparse_index_base_b,"axG",@progbits,_ZN9rocsparseL30bellmm_general_blockdim_kernelILi32ELi32EfifffEEv20rocsparse_operation_S1_20rocsparse_direction_T2_S3_NS_24const_host_device_scalarIT1_EES3_S3_PKS3_PKT3_PKT4_l16rocsparse_order_S6_PT5_lSF_21rocsparse_index_base_b,comdat
.Lfunc_end2:
	.size	_ZN9rocsparseL30bellmm_general_blockdim_kernelILi32ELi32EfifffEEv20rocsparse_operation_S1_20rocsparse_direction_T2_S3_NS_24const_host_device_scalarIT1_EES3_S3_PKS3_PKT3_PKT4_l16rocsparse_order_S6_PT5_lSF_21rocsparse_index_base_b, .Lfunc_end2-_ZN9rocsparseL30bellmm_general_blockdim_kernelILi32ELi32EfifffEEv20rocsparse_operation_S1_20rocsparse_direction_T2_S3_NS_24const_host_device_scalarIT1_EES3_S3_PKS3_PKT3_PKT4_l16rocsparse_order_S6_PT5_lSF_21rocsparse_index_base_b
                                        ; -- End function
	.set _ZN9rocsparseL30bellmm_general_blockdim_kernelILi32ELi32EfifffEEv20rocsparse_operation_S1_20rocsparse_direction_T2_S3_NS_24const_host_device_scalarIT1_EES3_S3_PKS3_PKT3_PKT4_l16rocsparse_order_S6_PT5_lSF_21rocsparse_index_base_b.num_vgpr, 40
	.set _ZN9rocsparseL30bellmm_general_blockdim_kernelILi32ELi32EfifffEEv20rocsparse_operation_S1_20rocsparse_direction_T2_S3_NS_24const_host_device_scalarIT1_EES3_S3_PKS3_PKT3_PKT4_l16rocsparse_order_S6_PT5_lSF_21rocsparse_index_base_b.num_agpr, 0
	.set _ZN9rocsparseL30bellmm_general_blockdim_kernelILi32ELi32EfifffEEv20rocsparse_operation_S1_20rocsparse_direction_T2_S3_NS_24const_host_device_scalarIT1_EES3_S3_PKS3_PKT3_PKT4_l16rocsparse_order_S6_PT5_lSF_21rocsparse_index_base_b.numbered_sgpr, 38
	.set _ZN9rocsparseL30bellmm_general_blockdim_kernelILi32ELi32EfifffEEv20rocsparse_operation_S1_20rocsparse_direction_T2_S3_NS_24const_host_device_scalarIT1_EES3_S3_PKS3_PKT3_PKT4_l16rocsparse_order_S6_PT5_lSF_21rocsparse_index_base_b.num_named_barrier, 0
	.set _ZN9rocsparseL30bellmm_general_blockdim_kernelILi32ELi32EfifffEEv20rocsparse_operation_S1_20rocsparse_direction_T2_S3_NS_24const_host_device_scalarIT1_EES3_S3_PKS3_PKT3_PKT4_l16rocsparse_order_S6_PT5_lSF_21rocsparse_index_base_b.private_seg_size, 0
	.set _ZN9rocsparseL30bellmm_general_blockdim_kernelILi32ELi32EfifffEEv20rocsparse_operation_S1_20rocsparse_direction_T2_S3_NS_24const_host_device_scalarIT1_EES3_S3_PKS3_PKT3_PKT4_l16rocsparse_order_S6_PT5_lSF_21rocsparse_index_base_b.uses_vcc, 1
	.set _ZN9rocsparseL30bellmm_general_blockdim_kernelILi32ELi32EfifffEEv20rocsparse_operation_S1_20rocsparse_direction_T2_S3_NS_24const_host_device_scalarIT1_EES3_S3_PKS3_PKT3_PKT4_l16rocsparse_order_S6_PT5_lSF_21rocsparse_index_base_b.uses_flat_scratch, 0
	.set _ZN9rocsparseL30bellmm_general_blockdim_kernelILi32ELi32EfifffEEv20rocsparse_operation_S1_20rocsparse_direction_T2_S3_NS_24const_host_device_scalarIT1_EES3_S3_PKS3_PKT3_PKT4_l16rocsparse_order_S6_PT5_lSF_21rocsparse_index_base_b.has_dyn_sized_stack, 0
	.set _ZN9rocsparseL30bellmm_general_blockdim_kernelILi32ELi32EfifffEEv20rocsparse_operation_S1_20rocsparse_direction_T2_S3_NS_24const_host_device_scalarIT1_EES3_S3_PKS3_PKT3_PKT4_l16rocsparse_order_S6_PT5_lSF_21rocsparse_index_base_b.has_recursion, 0
	.set _ZN9rocsparseL30bellmm_general_blockdim_kernelILi32ELi32EfifffEEv20rocsparse_operation_S1_20rocsparse_direction_T2_S3_NS_24const_host_device_scalarIT1_EES3_S3_PKS3_PKT3_PKT4_l16rocsparse_order_S6_PT5_lSF_21rocsparse_index_base_b.has_indirect_call, 0
	.section	.AMDGPU.csdata,"",@progbits
; Kernel info:
; codeLenInByte = 1808
; TotalNumSgprs: 40
; NumVgprs: 40
; ScratchSize: 0
; MemoryBound: 0
; FloatMode: 240
; IeeeMode: 1
; LDSByteSize: 8192 bytes/workgroup (compile time only)
; SGPRBlocks: 0
; VGPRBlocks: 2
; NumSGPRsForWavesPerEU: 40
; NumVGPRsForWavesPerEU: 40
; NamedBarCnt: 0
; Occupancy: 16
; WaveLimiterHint : 1
; COMPUTE_PGM_RSRC2:SCRATCH_EN: 0
; COMPUTE_PGM_RSRC2:USER_SGPR: 2
; COMPUTE_PGM_RSRC2:TRAP_HANDLER: 0
; COMPUTE_PGM_RSRC2:TGID_X_EN: 1
; COMPUTE_PGM_RSRC2:TGID_Y_EN: 1
; COMPUTE_PGM_RSRC2:TGID_Z_EN: 0
; COMPUTE_PGM_RSRC2:TIDIG_COMP_CNT: 1
	.section	.text._ZN9rocsparseL30bellmm_general_blockdim_kernelILi32ELi32EflfffEEv20rocsparse_operation_S1_20rocsparse_direction_T2_S3_NS_24const_host_device_scalarIT1_EES3_S3_PKS3_PKT3_PKT4_l16rocsparse_order_S6_PT5_lSF_21rocsparse_index_base_b,"axG",@progbits,_ZN9rocsparseL30bellmm_general_blockdim_kernelILi32ELi32EflfffEEv20rocsparse_operation_S1_20rocsparse_direction_T2_S3_NS_24const_host_device_scalarIT1_EES3_S3_PKS3_PKT3_PKT4_l16rocsparse_order_S6_PT5_lSF_21rocsparse_index_base_b,comdat
	.globl	_ZN9rocsparseL30bellmm_general_blockdim_kernelILi32ELi32EflfffEEv20rocsparse_operation_S1_20rocsparse_direction_T2_S3_NS_24const_host_device_scalarIT1_EES3_S3_PKS3_PKT3_PKT4_l16rocsparse_order_S6_PT5_lSF_21rocsparse_index_base_b ; -- Begin function _ZN9rocsparseL30bellmm_general_blockdim_kernelILi32ELi32EflfffEEv20rocsparse_operation_S1_20rocsparse_direction_T2_S3_NS_24const_host_device_scalarIT1_EES3_S3_PKS3_PKT3_PKT4_l16rocsparse_order_S6_PT5_lSF_21rocsparse_index_base_b
	.p2align	8
	.type	_ZN9rocsparseL30bellmm_general_blockdim_kernelILi32ELi32EflfffEEv20rocsparse_operation_S1_20rocsparse_direction_T2_S3_NS_24const_host_device_scalarIT1_EES3_S3_PKS3_PKT3_PKT4_l16rocsparse_order_S6_PT5_lSF_21rocsparse_index_base_b,@function
_ZN9rocsparseL30bellmm_general_blockdim_kernelILi32ELi32EflfffEEv20rocsparse_operation_S1_20rocsparse_direction_T2_S3_NS_24const_host_device_scalarIT1_EES3_S3_PKS3_PKT3_PKT4_l16rocsparse_order_S6_PT5_lSF_21rocsparse_index_base_b: ; @_ZN9rocsparseL30bellmm_general_blockdim_kernelILi32ELi32EflfffEEv20rocsparse_operation_S1_20rocsparse_direction_T2_S3_NS_24const_host_device_scalarIT1_EES3_S3_PKS3_PKT3_PKT4_l16rocsparse_order_S6_PT5_lSF_21rocsparse_index_base_b
; %bb.0:
	s_clause 0x2
	s_load_b96 s[24:26], s[0:1], 0x78
	s_load_b256 s[4:11], s[0:1], 0x10
	s_load_b64 s[2:3], s[0:1], 0x60
	s_wait_kmcnt 0x0
	s_bitcmp1_b32 s26, 0
	s_cselect_b32 s12, -1, 0
	s_delay_alu instid0(SALU_CYCLE_1)
	s_and_b32 vcc_lo, exec_lo, s12
	s_xor_b32 s12, s12, -1
	s_cbranch_vccnz .LBB3_2
; %bb.1:
	s_load_b32 s8, s[8:9], 0x0
.LBB3_2:
	s_and_not1_b32 vcc_lo, exec_lo, s12
	s_cbranch_vccnz .LBB3_4
; %bb.3:
	s_load_b32 s2, s[2:3], 0x0
.LBB3_4:
	s_wait_kmcnt 0x0
	s_cmp_eq_f32 s8, 0
	s_mov_b32 s27, 0
	s_cselect_b32 s3, -1, 0
	s_cmp_eq_f32 s2, 1.0
	s_cselect_b32 s9, -1, 0
	s_delay_alu instid0(SALU_CYCLE_1) | instskip(NEXT) | instid1(SALU_CYCLE_1)
	s_and_b32 s3, s3, s9
	s_and_b32 vcc_lo, exec_lo, s3
	s_cbranch_vccnz .LBB3_44
; %bb.5:
	s_bfe_u32 s3, ttmp6, 0x4000c
	s_load_b64 s[28:29], s[0:1], 0x30
	s_add_co_i32 s3, s3, 1
	s_and_b32 s9, ttmp6, 15
	s_mul_i32 s12, ttmp9, s3
	s_getreg_b32 s3, hwreg(HW_REG_IB_STS2, 6, 4)
	s_add_co_i32 s9, s9, s12
	s_cmp_eq_u32 s3, 0
	s_mov_b64 s[30:31], 0
	s_cselect_b32 s26, ttmp9, s9
	s_delay_alu instid0(SALU_CYCLE_1)
	v_cmp_le_i64_e64 s9, s[4:5], s[26:27]
	v_cmp_gt_i64_e64 s33, s[4:5], s[26:27]
	s_and_b32 vcc_lo, exec_lo, s9
	s_cbranch_vccnz .LBB3_9
; %bb.6:
	s_wait_kmcnt 0x0
	s_or_b64 s[12:13], s[10:11], s[28:29]
	s_delay_alu instid0(SALU_CYCLE_1) | instskip(NEXT) | instid1(SALU_CYCLE_1)
	s_and_b64 s[12:13], s[12:13], 0xffffffff00000000
	s_cmp_lg_u64 s[12:13], 0
	s_cbranch_scc0 .LBB3_45
; %bb.7:
	s_ashr_i32 s12, s29, 31
	s_mov_b32 s17, 0
	s_mov_b32 s13, s12
	s_delay_alu instid0(SALU_CYCLE_1) | instskip(NEXT) | instid1(SALU_CYCLE_1)
	s_add_nc_u64 s[14:15], s[28:29], s[12:13]
	s_xor_b64 s[14:15], s[14:15], s[12:13]
	s_delay_alu instid0(SALU_CYCLE_1) | instskip(SKIP_2) | instid1(SALU_CYCLE_2)
	s_cvt_f32_u32 s9, s14
	s_cvt_f32_u32 s16, s15
	s_sub_nc_u64 s[20:21], 0, s[14:15]
	s_fmamk_f32 s9, s16, 0x4f800000, s9
	s_delay_alu instid0(SALU_CYCLE_3) | instskip(NEXT) | instid1(TRANS32_DEP_1)
	v_s_rcp_f32 s9, s9
	s_mul_f32 s9, s9, 0x5f7ffffc
	s_delay_alu instid0(SALU_CYCLE_3) | instskip(NEXT) | instid1(SALU_CYCLE_3)
	s_mul_f32 s16, s9, 0x2f800000
	s_trunc_f32 s16, s16
	s_delay_alu instid0(SALU_CYCLE_3) | instskip(SKIP_1) | instid1(SALU_CYCLE_2)
	s_fmamk_f32 s9, s16, 0xcf800000, s9
	s_cvt_u32_f32 s19, s16
	s_cvt_u32_f32 s18, s9
	s_delay_alu instid0(SALU_CYCLE_3) | instskip(NEXT) | instid1(SALU_CYCLE_1)
	s_mul_u64 s[22:23], s[20:21], s[18:19]
	s_mul_hi_u32 s31, s18, s23
	s_mul_i32 s30, s18, s23
	s_mul_hi_u32 s16, s18, s22
	s_mul_i32 s34, s19, s22
	s_add_nc_u64 s[30:31], s[16:17], s[30:31]
	s_mul_hi_u32 s9, s19, s22
	s_mul_hi_u32 s35, s19, s23
	s_add_co_u32 s16, s30, s34
	s_add_co_ci_u32 s16, s31, s9
	s_mul_i32 s22, s19, s23
	s_add_co_ci_u32 s23, s35, 0
	s_delay_alu instid0(SALU_CYCLE_1) | instskip(NEXT) | instid1(SALU_CYCLE_1)
	s_add_nc_u64 s[22:23], s[16:17], s[22:23]
	s_add_co_u32 s18, s18, s22
	s_cselect_b32 s9, -1, 0
	s_delay_alu instid0(SALU_CYCLE_1) | instskip(SKIP_1) | instid1(SALU_CYCLE_1)
	s_cmp_lg_u32 s9, 0
	s_add_co_ci_u32 s19, s19, s23
	s_mul_u64 s[20:21], s[20:21], s[18:19]
	s_delay_alu instid0(SALU_CYCLE_1)
	s_mul_hi_u32 s23, s18, s21
	s_mul_i32 s22, s18, s21
	s_mul_hi_u32 s16, s18, s20
	s_mul_i32 s30, s19, s20
	s_add_nc_u64 s[22:23], s[16:17], s[22:23]
	s_mul_hi_u32 s9, s19, s20
	s_mul_hi_u32 s31, s19, s21
	s_add_co_u32 s16, s22, s30
	s_add_co_ci_u32 s16, s23, s9
	s_mul_i32 s20, s19, s21
	s_add_co_ci_u32 s21, s31, 0
	s_delay_alu instid0(SALU_CYCLE_1) | instskip(NEXT) | instid1(SALU_CYCLE_1)
	s_add_nc_u64 s[20:21], s[16:17], s[20:21]
	s_add_co_u32 s9, s18, s20
	s_cselect_b32 s16, -1, 0
	s_delay_alu instid0(SALU_CYCLE_1) | instskip(SKIP_2) | instid1(SALU_CYCLE_1)
	s_cmp_lg_u32 s16, 0
	s_add_co_ci_u32 s30, s19, s21
	s_ashr_i32 s18, s11, 31
	s_mov_b32 s19, s18
	s_delay_alu instid0(SALU_CYCLE_1) | instskip(NEXT) | instid1(SALU_CYCLE_1)
	s_add_nc_u64 s[20:21], s[10:11], s[18:19]
	s_xor_b64 s[20:21], s[20:21], s[18:19]
	s_delay_alu instid0(SALU_CYCLE_1)
	s_mul_hi_u32 s23, s20, s30
	s_mul_i32 s22, s20, s30
	s_mul_hi_u32 s16, s20, s9
	s_mul_hi_u32 s31, s21, s9
	s_mul_i32 s9, s21, s9
	s_add_nc_u64 s[22:23], s[16:17], s[22:23]
	s_mul_hi_u32 s11, s21, s30
	s_add_co_u32 s9, s22, s9
	s_add_co_ci_u32 s16, s23, s31
	s_mul_i32 s30, s21, s30
	s_add_co_ci_u32 s31, s11, 0
	s_delay_alu instid0(SALU_CYCLE_1) | instskip(NEXT) | instid1(SALU_CYCLE_1)
	s_add_nc_u64 s[22:23], s[16:17], s[30:31]
	s_and_b64 s[30:31], s[22:23], 0xffffffff00000000
	s_delay_alu instid0(SALU_CYCLE_1) | instskip(NEXT) | instid1(SALU_CYCLE_1)
	s_or_b32 s30, s30, s22
	s_mul_u64 s[22:23], s[14:15], s[30:31]
	s_add_nc_u64 s[34:35], s[30:31], 1
	s_sub_co_u32 s9, s20, s22
	s_cselect_b32 s11, -1, 0
	s_sub_co_i32 s16, s21, s23
	s_cmp_lg_u32 s11, 0
	s_add_nc_u64 s[36:37], s[30:31], 2
	s_sub_co_ci_u32 s16, s16, s15
	s_sub_co_u32 s20, s9, s14
	s_cselect_b32 s22, -1, 0
	s_delay_alu instid0(SALU_CYCLE_1) | instskip(SKIP_1) | instid1(SALU_CYCLE_1)
	s_cmp_lg_u32 s22, 0
	s_sub_co_ci_u32 s16, s16, 0
	s_cmp_ge_u32 s16, s15
	s_cselect_b32 s22, -1, 0
	s_cmp_ge_u32 s20, s14
	s_cselect_b32 s20, -1, 0
	s_cmp_eq_u32 s16, s15
	s_cselect_b32 s16, s20, s22
	s_delay_alu instid0(SALU_CYCLE_1) | instskip(SKIP_4) | instid1(SALU_CYCLE_1)
	s_cmp_lg_u32 s16, 0
	s_cselect_b32 s16, s36, s34
	s_cselect_b32 s20, s37, s35
	s_cmp_lg_u32 s11, 0
	s_sub_co_ci_u32 s11, s21, s23
	s_cmp_ge_u32 s11, s15
	s_cselect_b32 s21, -1, 0
	s_cmp_ge_u32 s9, s14
	s_cselect_b32 s9, -1, 0
	s_cmp_eq_u32 s11, s15
	s_cselect_b32 s9, s9, s21
	s_delay_alu instid0(SALU_CYCLE_1) | instskip(SKIP_3) | instid1(SALU_CYCLE_1)
	s_cmp_lg_u32 s9, 0
	s_cselect_b32 s15, s20, s31
	s_cselect_b32 s14, s16, s30
	s_xor_b64 s[12:13], s[18:19], s[12:13]
	s_xor_b64 s[14:15], s[14:15], s[12:13]
	s_delay_alu instid0(SALU_CYCLE_1)
	s_sub_nc_u64 s[30:31], s[14:15], s[12:13]
	s_cbranch_execnz .LBB3_9
.LBB3_8:
	v_cvt_f32_u32_e32 v1, s28
	s_sub_co_i32 s11, 0, s28
	s_mov_b32 s31, 0
	s_delay_alu instid0(VALU_DEP_1) | instskip(SKIP_1) | instid1(TRANS32_DEP_1)
	v_rcp_iflag_f32_e32 v1, v1
	v_nop
	v_mul_f32_e32 v1, 0x4f7ffffe, v1
	s_delay_alu instid0(VALU_DEP_1) | instskip(NEXT) | instid1(VALU_DEP_1)
	v_cvt_u32_f32_e32 v1, v1
	v_readfirstlane_b32 s9, v1
	s_mul_i32 s11, s11, s9
	s_delay_alu instid0(SALU_CYCLE_1) | instskip(NEXT) | instid1(SALU_CYCLE_1)
	s_mul_hi_u32 s11, s9, s11
	s_add_co_i32 s9, s9, s11
	s_delay_alu instid0(SALU_CYCLE_1) | instskip(NEXT) | instid1(SALU_CYCLE_1)
	s_mul_hi_u32 s9, s10, s9
	s_mul_i32 s11, s9, s28
	s_delay_alu instid0(SALU_CYCLE_1)
	s_sub_co_i32 s10, s10, s11
	s_add_co_i32 s11, s9, 1
	s_sub_co_i32 s12, s10, s28
	s_cmp_ge_u32 s10, s28
	s_cselect_b32 s9, s11, s9
	s_cselect_b32 s10, s12, s10
	s_add_co_i32 s11, s9, 1
	s_cmp_ge_u32 s10, s28
	s_cselect_b32 s30, s11, s9
.LBB3_9:
	s_wait_kmcnt 0x0
	v_cmp_lt_i64_e64 s9, s[28:29], 1
	s_and_b32 vcc_lo, exec_lo, s9
	s_cbranch_vccnz .LBB3_44
; %bb.10:
	s_clause 0x1
	s_load_b64 s[34:35], s[0:1], 0x4
	s_load_b32 s9, s[0:1], 0x58
	s_bfe_u32 s10, ttmp6, 0x40010
	s_bfe_u32 s11, ttmp6, 0x40004
	s_add_co_i32 s10, s10, 1
	v_bfe_u32 v2, v0, 10, 10
	s_mul_i32 s10, ttmp7, s10
	v_and_b32_e32 v0, 0x3ff, v0
	s_add_co_i32 s11, s11, s10
	s_cmp_eq_u32 s3, 0
	v_mov_b32_e32 v3, 0
	s_cselect_b32 s3, ttmp7, s11
	s_mov_b32 s11, 0
	s_lshl_b32 s10, s3, 5
	v_lshlrev_b32_e32 v6, 2, v0
	v_add_nc_u64_e32 v[4:5], s[10:11], v[2:3]
	s_clause 0x1
	s_load_b128 s[20:23], s[0:1], 0x68
	s_load_b256 s[12:19], s[0:1], 0x38
	v_dual_mov_b32 v7, v3 :: v_dual_lshlrev_b32 v8, 2, v2
	v_dual_mov_b32 v9, v3 :: v_dual_lshlrev_b32 v32, 7, v2
	s_wait_kmcnt 0x0
	s_cmp_eq_u32 s34, 0x6f
	v_cmp_gt_i64_e64 s0, s[6:7], v[4:5]
	s_cselect_b32 s1, -1, 0
	s_cmp_lg_u32 s9, 1
	s_mul_u64 s[6:7], s[28:29], s[26:27]
	s_cselect_b32 s40, -1, 0
	s_cmp_lg_u32 s35, 0
	v_or_b32_e32 v20, 0x1000, v6
	s_cselect_b32 s3, -1, 0
	s_cmp_lg_u32 s24, 1
	v_cmp_gt_i64_e64 s43, s[30:31], 0
	s_cselect_b32 s9, -1, 0
	s_and_b32 s33, s33, s0
	s_cmp_neq_f32 s2, 0
	s_mul_u64 s[36:37], s[28:29], s[28:29]
	v_mul_u64_e32 v[14:15], s[18:19], v[4:5]
	v_dual_mov_b32 v1, v3 :: v_dual_add_nc_u32 v33, v6, v32
	s_cselect_b32 s42, -1, 0
	s_lshl_b64 s[34:35], s[6:7], 2
	v_add_nc_u32_e32 v34, v20, v32
	v_add_nc_u64_e32 v[10:11], s[34:35], v[6:7]
	v_add_nc_u64_e32 v[12:13], s[34:35], v[8:9]
	v_add_nc_u32_e32 v35, 0x800, v6
	v_add_nc_u32_e32 v36, 0xc00, v6
	s_mul_u64 s[38:39], s[36:37], s[4:5]
	s_xor_b32 s1, s1, s40
	s_mov_b64 s[34:35], 0
	v_mad_nc_u64_u32 v[16:17], s28, v10, v[8:9]
	v_mad_nc_u64_u32 v[18:19], s28, v12, v[6:7]
	v_mul_u64_e32 v[8:9], s[22:23], v[4:5]
	s_mov_b32 s10, s25
	s_lshl_b64 s[24:25], s[28:29], 2
	s_lshl_b64 s[36:37], s[28:29], 7
	s_xor_b32 s44, s1, -1
	s_delay_alu instid0(VALU_DEP_3) | instskip(NEXT) | instid1(VALU_DEP_3)
	v_mad_u32 v10, s29, v10, v17
	v_mad_u32 v12, s29, v12, v19
	s_delay_alu instid0(VALU_DEP_2) | instskip(NEXT) | instid1(VALU_DEP_2)
	v_mad_u32 v17, s28, v11, v10
	v_mad_u32 v19, s28, v13, v12
	v_lshl_add_u64 v[12:13], v[14:15], 2, v[6:7]
	v_lshl_add_u64 v[10:11], v[4:5], 2, s[16:17]
	v_add_nc_u32_e32 v7, 0x400, v6
	s_delay_alu instid0(VALU_DEP_3)
	v_add_nc_u64_e32 v[12:13], s[16:17], v[12:13]
	s_lshl_b64 s[16:17], s[18:19], 2
	s_lshl_b64 s[18:19], s[18:19], 7
	v_add_nc_u64_e32 v[14:15], s[14:15], v[16:17]
	v_add_nc_u64_e32 v[16:17], s[14:15], v[18:19]
	s_lshl_b64 s[14:15], s[38:39], 2
	s_branch .LBB3_12
.LBB3_11:                               ;   in Loop: Header=BB3_12 Depth=1
	s_wait_xcnt 0x0
	s_or_b32 exec_lo, exec_lo, s1
	s_add_nc_u64 s[34:35], s[34:35], 32
	v_add_nc_u64_e32 v[14:15], s[36:37], v[14:15]
	v_cmp_lt_i64_e64 s1, s[34:35], s[28:29]
	v_add_nc_u64_e32 v[16:17], 0x80, v[16:17]
	s_and_b32 vcc_lo, exec_lo, s1
	s_cbranch_vccz .LBB3_44
.LBB3_12:                               ; =>This Loop Header: Depth=1
                                        ;     Child Loop BB3_15 Depth 2
                                        ;       Child Loop BB3_17 Depth 3
	v_add_nc_u64_e32 v[18:19], s[34:35], v[0:1]
	v_mov_b32_e32 v37, 0
	s_and_not1_b32 vcc_lo, exec_lo, s43
	s_delay_alu instid0(VALU_DEP_2)
	v_cmp_gt_i64_e64 s1, s[28:29], v[18:19]
	s_cbranch_vccnz .LBB3_35
; %bb.13:                               ;   in Loop: Header=BB3_12 Depth=1
	v_mov_b64_e32 v[20:21], v[16:17]
	v_mov_b64_e32 v[22:23], v[14:15]
	v_mov_b32_e32 v37, 0
	s_mov_b64 s[38:39], 0
	s_branch .LBB3_15
.LBB3_14:                               ;   in Loop: Header=BB3_15 Depth=2
	v_add_nc_u64_e32 v[22:23], s[14:15], v[22:23]
	v_add_nc_u64_e32 v[20:21], s[14:15], v[20:21]
	s_add_nc_u64 s[38:39], s[38:39], 1
	s_delay_alu instid0(SALU_CYCLE_1)
	s_cmp_eq_u64 s[38:39], s[30:31]
	s_cbranch_scc1 .LBB3_35
.LBB3_15:                               ;   Parent Loop BB3_12 Depth=1
                                        ; =>  This Loop Header: Depth=2
                                        ;       Child Loop BB3_17 Depth 3
	s_mul_u64 s[40:41], s[38:39], s[4:5]
	s_delay_alu instid0(VALU_DEP_2) | instskip(SKIP_1) | instid1(SALU_CYCLE_1)
	v_mov_b64_e32 v[30:31], v[22:23]
	s_add_nc_u64 s[40:41], s[40:41], s[26:27]
	s_lshl_b64 s[40:41], s[40:41], 3
	s_delay_alu instid0(SALU_CYCLE_1) | instskip(SKIP_4) | instid1(SALU_CYCLE_1)
	s_add_nc_u64 s[40:41], s[12:13], s[40:41]
	s_load_b64 s[40:41], s[40:41], 0x0
	s_wait_kmcnt 0x0
	s_wait_xcnt 0x0
	s_sub_nc_u64 s[40:41], s[40:41], s[10:11]
	v_mad_nc_u64_u32 v[28:29], s40, s28, v[0:1]
	v_mad_nc_u64_u32 v[26:27], s24, s40, v[12:13]
	s_mul_i32 s45, s41, s28
	s_mul_i32 s46, s40, s29
	s_delay_alu instid0(VALU_DEP_2) | instskip(NEXT) | instid1(VALU_DEP_1)
	v_mad_nc_u64_u32 v[24:25], s16, v28, v[10:11]
	v_mad_u32 v25, s17, v28, v25
	s_delay_alu instid0(VALU_DEP_4)
	v_add3_u32 v28, s46, s45, v29
	s_mul_i32 s45, s25, s40
	s_mul_i32 s46, s24, s41
	s_delay_alu instid0(VALU_DEP_4) | instid1(SALU_CYCLE_1)
	v_add3_u32 v27, s46, s45, v27
	v_cmp_gt_i64_e64 s45, s[40:41], -1
	s_mov_b64 s[40:41], 0
	v_mad_u32 v25, s16, v28, v25
	v_mov_b64_e32 v[28:29], v[20:21]
	s_branch .LBB3_17
.LBB3_16:                               ;   in Loop: Header=BB3_17 Depth=3
	s_add_nc_u64 s[40:41], s[40:41], 32
	v_add_nc_u64_e32 v[26:27], 0x80, v[26:27]
	v_cmp_ge_i64_e64 s46, s[40:41], s[28:29]
	v_add_nc_u64_e32 v[30:31], 0x80, v[30:31]
	v_add_nc_u64_e32 v[24:25], s[18:19], v[24:25]
	;; [unrolled: 1-line block ×3, first 2 shown]
	s_barrier_signal -1
	s_barrier_wait -1
	s_and_b32 vcc_lo, exec_lo, s46
	s_cbranch_vccnz .LBB3_14
.LBB3_17:                               ;   Parent Loop BB3_12 Depth=1
                                        ;     Parent Loop BB3_15 Depth=2
                                        ; =>    This Inner Loop Header: Depth=3
	v_add_nc_u64_e32 v[38:39], s[40:41], v[0:1]
	s_mov_b32 s47, -1
	s_delay_alu instid0(VALU_DEP_1)
	v_cmp_gt_i64_e32 vcc_lo, s[28:29], v[38:39]
                                        ; implicit-def: $vgpr38
	s_and_b32 s46, s0, vcc_lo
	s_and_b32 vcc_lo, exec_lo, s44
	s_and_b32 s46, s46, s45
	s_cbranch_vccz .LBB3_21
; %bb.18:                               ;   in Loop: Header=BB3_17 Depth=3
	v_mov_b32_e32 v38, 0
	s_and_saveexec_b32 s47, s46
	s_cbranch_execz .LBB3_20
; %bb.19:                               ;   in Loop: Header=BB3_17 Depth=3
	global_load_b32 v38, v[24:25], off
.LBB3_20:                               ;   in Loop: Header=BB3_17 Depth=3
	s_wait_xcnt 0x0
	s_or_b32 exec_lo, exec_lo, s47
	s_mov_b32 s47, 0
.LBB3_21:                               ;   in Loop: Header=BB3_17 Depth=3
	s_delay_alu instid0(SALU_CYCLE_1)
	s_and_not1_b32 vcc_lo, exec_lo, s47
	s_cbranch_vccnz .LBB3_25
; %bb.22:                               ;   in Loop: Header=BB3_17 Depth=3
	s_wait_loadcnt 0x0
	v_mov_b32_e32 v38, 0
	s_and_saveexec_b32 s47, s46
	s_cbranch_execz .LBB3_24
; %bb.23:                               ;   in Loop: Header=BB3_17 Depth=3
	global_load_b32 v38, v[26:27], off
.LBB3_24:                               ;   in Loop: Header=BB3_17 Depth=3
	s_wait_xcnt 0x0
	s_or_b32 exec_lo, exec_lo, s47
.LBB3_25:                               ;   in Loop: Header=BB3_17 Depth=3
	v_add_nc_u64_e32 v[40:41], s[40:41], v[2:3]
	s_wait_loadcnt 0x0
	ds_store_b32 v34, v38
	v_cmp_gt_i64_e32 vcc_lo, s[28:29], v[40:41]
	s_and_b32 s46, s1, vcc_lo
	s_and_b32 vcc_lo, exec_lo, s3
	s_and_b32 s46, s46, s45
	s_cbranch_vccz .LBB3_29
; %bb.26:                               ;   in Loop: Header=BB3_17 Depth=3
	v_mov_b32_e32 v38, 0
	s_and_saveexec_b32 s47, s46
	s_cbranch_execz .LBB3_28
; %bb.27:                               ;   in Loop: Header=BB3_17 Depth=3
	global_load_b32 v38, v[28:29], off
.LBB3_28:                               ;   in Loop: Header=BB3_17 Depth=3
	s_wait_xcnt 0x0
	s_or_b32 exec_lo, exec_lo, s47
	s_cbranch_execz .LBB3_30
	s_branch .LBB3_33
.LBB3_29:                               ;   in Loop: Header=BB3_17 Depth=3
                                        ; implicit-def: $vgpr38
.LBB3_30:                               ;   in Loop: Header=BB3_17 Depth=3
	s_wait_loadcnt 0x0
	v_mov_b32_e32 v38, 0
	s_and_saveexec_b32 s47, s46
	s_cbranch_execz .LBB3_32
; %bb.31:                               ;   in Loop: Header=BB3_17 Depth=3
	global_load_b32 v38, v[30:31], off
.LBB3_32:                               ;   in Loop: Header=BB3_17 Depth=3
	s_wait_xcnt 0x0
	s_or_b32 exec_lo, exec_lo, s47
.LBB3_33:                               ;   in Loop: Header=BB3_17 Depth=3
	s_delay_alu instid0(SALU_CYCLE_1)
	s_and_not1_b32 vcc_lo, exec_lo, s45
	s_wait_loadcnt 0x0
	ds_store_b32 v33, v38
	s_wait_dscnt 0x0
	s_barrier_signal -1
	s_barrier_wait -1
	s_cbranch_vccnz .LBB3_16
; %bb.34:                               ;   in Loop: Header=BB3_17 Depth=3
	ds_load_2addr_b32 v[46:47], v6 offset1:32
	ds_load_b128 v[38:41], v32 offset:4096
	ds_load_2addr_b32 v[48:49], v6 offset0:64 offset1:96
	ds_load_b128 v[42:45], v32 offset:4112
	ds_load_2addr_b32 v[50:51], v6 offset0:128 offset1:160
	s_wait_dscnt 0x3
	v_fmac_f32_e32 v37, v46, v38
	s_delay_alu instid0(VALU_DEP_1) | instskip(SKIP_3) | instid1(VALU_DEP_1)
	v_fmac_f32_e32 v37, v47, v39
	ds_load_2addr_b32 v[46:47], v6 offset0:192 offset1:224
	s_wait_dscnt 0x3
	v_fmac_f32_e32 v37, v48, v40
	v_fmac_f32_e32 v37, v49, v41
	ds_load_b128 v[38:41], v32 offset:4128
	ds_load_2addr_b32 v[48:49], v7 offset1:32
	s_wait_dscnt 0x3
	v_fmac_f32_e32 v37, v50, v42
	s_delay_alu instid0(VALU_DEP_1) | instskip(SKIP_3) | instid1(VALU_DEP_1)
	v_fmac_f32_e32 v37, v51, v43
	ds_load_2addr_b32 v[50:51], v7 offset0:64 offset1:96
	s_wait_dscnt 0x3
	v_fmac_f32_e32 v37, v46, v44
	v_fmac_f32_e32 v37, v47, v45
	ds_load_b128 v[42:45], v32 offset:4144
	ds_load_2addr_b32 v[46:47], v7 offset0:128 offset1:160
	s_wait_dscnt 0x3
	v_fmac_f32_e32 v37, v48, v38
	s_delay_alu instid0(VALU_DEP_1) | instskip(SKIP_3) | instid1(VALU_DEP_1)
	v_fmac_f32_e32 v37, v49, v39
	ds_load_2addr_b32 v[48:49], v7 offset0:192 offset1:224
	s_wait_dscnt 0x3
	v_fmac_f32_e32 v37, v50, v40
	v_fmac_f32_e32 v37, v51, v41
	ds_load_2addr_b32 v[50:51], v35 offset1:32
	ds_load_b128 v[38:41], v32 offset:4160
	s_wait_dscnt 0x3
	v_fmac_f32_e32 v37, v46, v42
	s_delay_alu instid0(VALU_DEP_1) | instskip(SKIP_3) | instid1(VALU_DEP_1)
	v_fmac_f32_e32 v37, v47, v43
	ds_load_2addr_b32 v[46:47], v35 offset0:64 offset1:96
	s_wait_dscnt 0x3
	v_fmac_f32_e32 v37, v48, v44
	v_fmac_f32_e32 v37, v49, v45
	ds_load_2addr_b32 v[48:49], v35 offset0:128 offset1:160
	ds_load_b128 v[42:45], v32 offset:4176
	s_wait_dscnt 0x3
	v_fmac_f32_e32 v37, v50, v38
	s_delay_alu instid0(VALU_DEP_1) | instskip(SKIP_3) | instid1(VALU_DEP_1)
	v_fmac_f32_e32 v37, v51, v39
	ds_load_2addr_b32 v[50:51], v35 offset0:192 offset1:224
	s_wait_dscnt 0x3
	v_fmac_f32_e32 v37, v46, v40
	v_fmac_f32_e32 v37, v47, v41
	ds_load_2addr_b32 v[46:47], v36 offset1:32
	ds_load_b128 v[38:41], v32 offset:4192
	s_wait_dscnt 0x3
	v_fmac_f32_e32 v37, v48, v42
	s_delay_alu instid0(VALU_DEP_1) | instskip(SKIP_3) | instid1(VALU_DEP_1)
	v_fmac_f32_e32 v37, v49, v43
	ds_load_2addr_b32 v[48:49], v36 offset0:64 offset1:96
	s_wait_dscnt 0x3
	v_fmac_f32_e32 v37, v50, v44
	v_fmac_f32_e32 v37, v51, v45
	ds_load_b128 v[42:45], v32 offset:4208
	ds_load_2addr_b32 v[50:51], v36 offset0:128 offset1:160
	s_wait_dscnt 0x3
	v_fmac_f32_e32 v37, v46, v38
	s_delay_alu instid0(VALU_DEP_1) | instskip(SKIP_3) | instid1(VALU_DEP_1)
	v_fmac_f32_e32 v37, v47, v39
	ds_load_2addr_b32 v[38:39], v36 offset0:192 offset1:224
	s_wait_dscnt 0x3
	v_fmac_f32_e32 v37, v48, v40
	v_fmac_f32_e32 v37, v49, v41
	s_wait_dscnt 0x1
	s_delay_alu instid0(VALU_DEP_1) | instskip(NEXT) | instid1(VALU_DEP_1)
	v_fmac_f32_e32 v37, v50, v42
	v_fmac_f32_e32 v37, v51, v43
	s_wait_dscnt 0x0
	s_delay_alu instid0(VALU_DEP_1) | instskip(NEXT) | instid1(VALU_DEP_1)
	v_fmac_f32_e32 v37, v38, v44
	v_fmac_f32_e32 v37, v39, v45
	s_branch .LBB3_16
.LBB3_35:                               ;   in Loop: Header=BB3_12 Depth=1
	v_add_nc_u64_e32 v[22:23], s[6:7], v[18:19]
	s_and_b32 vcc_lo, exec_lo, s9
	s_mov_b32 s1, -1
                                        ; implicit-def: $vgpr20_vgpr21
	s_cbranch_vccnz .LBB3_38
; %bb.36:                               ;   in Loop: Header=BB3_12 Depth=1
	s_and_not1_b32 vcc_lo, exec_lo, s1
	s_cbranch_vccz .LBB3_39
.LBB3_37:                               ;   in Loop: Header=BB3_12 Depth=1
	v_cmp_gt_i64_e32 vcc_lo, s[28:29], v[18:19]
	s_and_b32 s38, s33, vcc_lo
	s_delay_alu instid0(SALU_CYCLE_1)
	s_and_saveexec_b32 s1, s38
	s_cbranch_execz .LBB3_11
	s_branch .LBB3_40
.LBB3_38:                               ;   in Loop: Header=BB3_12 Depth=1
	s_delay_alu instid0(VALU_DEP_1) | instskip(NEXT) | instid1(VALU_DEP_1)
	v_mad_nc_u64_u32 v[20:21], v22, s22, v[4:5]
	v_mad_u32 v21, v23, s22, v21
	s_delay_alu instid0(VALU_DEP_1)
	v_mad_u32 v21, v22, s23, v21
	s_cbranch_execnz .LBB3_37
.LBB3_39:                               ;   in Loop: Header=BB3_12 Depth=1
	s_delay_alu instid0(VALU_DEP_1) | instskip(SKIP_2) | instid1(SALU_CYCLE_1)
	v_add_nc_u64_e32 v[20:21], v[22:23], v[8:9]
	v_cmp_gt_i64_e32 vcc_lo, s[28:29], v[18:19]
	s_and_b32 s38, s33, vcc_lo
	s_and_saveexec_b32 s1, s38
	s_cbranch_execz .LBB3_11
.LBB3_40:                               ;   in Loop: Header=BB3_12 Depth=1
	s_delay_alu instid0(VALU_DEP_2)
	v_lshl_add_u64 v[18:19], v[20:21], 2, s[20:21]
	v_mul_f32_e32 v20, s8, v37
	s_and_b32 vcc_lo, exec_lo, s42
	s_cbranch_vccz .LBB3_42
; %bb.41:                               ;   in Loop: Header=BB3_12 Depth=1
	global_load_b32 v21, v[18:19], off
	s_wait_loadcnt 0x0
	v_fma_f32 v21, s2, v21, v20
	global_store_b32 v[18:19], v21, off
	s_cbranch_execnz .LBB3_11
	s_branch .LBB3_43
.LBB3_42:                               ;   in Loop: Header=BB3_12 Depth=1
.LBB3_43:                               ;   in Loop: Header=BB3_12 Depth=1
	global_store_b32 v[18:19], v20, off
	s_branch .LBB3_11
.LBB3_44:
	s_endpgm
.LBB3_45:
                                        ; implicit-def: $sgpr30_sgpr31
	s_branch .LBB3_8
	.section	.rodata,"a",@progbits
	.p2align	6, 0x0
	.amdhsa_kernel _ZN9rocsparseL30bellmm_general_blockdim_kernelILi32ELi32EflfffEEv20rocsparse_operation_S1_20rocsparse_direction_T2_S3_NS_24const_host_device_scalarIT1_EES3_S3_PKS3_PKT3_PKT4_l16rocsparse_order_S6_PT5_lSF_21rocsparse_index_base_b
		.amdhsa_group_segment_fixed_size 8192
		.amdhsa_private_segment_fixed_size 0
		.amdhsa_kernarg_size 132
		.amdhsa_user_sgpr_count 2
		.amdhsa_user_sgpr_dispatch_ptr 0
		.amdhsa_user_sgpr_queue_ptr 0
		.amdhsa_user_sgpr_kernarg_segment_ptr 1
		.amdhsa_user_sgpr_dispatch_id 0
		.amdhsa_user_sgpr_kernarg_preload_length 0
		.amdhsa_user_sgpr_kernarg_preload_offset 0
		.amdhsa_user_sgpr_private_segment_size 0
		.amdhsa_wavefront_size32 1
		.amdhsa_uses_dynamic_stack 0
		.amdhsa_enable_private_segment 0
		.amdhsa_system_sgpr_workgroup_id_x 1
		.amdhsa_system_sgpr_workgroup_id_y 1
		.amdhsa_system_sgpr_workgroup_id_z 0
		.amdhsa_system_sgpr_workgroup_info 0
		.amdhsa_system_vgpr_workitem_id 1
		.amdhsa_next_free_vgpr 52
		.amdhsa_next_free_sgpr 48
		.amdhsa_named_barrier_count 0
		.amdhsa_reserve_vcc 1
		.amdhsa_float_round_mode_32 0
		.amdhsa_float_round_mode_16_64 0
		.amdhsa_float_denorm_mode_32 3
		.amdhsa_float_denorm_mode_16_64 3
		.amdhsa_fp16_overflow 0
		.amdhsa_memory_ordered 1
		.amdhsa_forward_progress 1
		.amdhsa_inst_pref_size 20
		.amdhsa_round_robin_scheduling 0
		.amdhsa_exception_fp_ieee_invalid_op 0
		.amdhsa_exception_fp_denorm_src 0
		.amdhsa_exception_fp_ieee_div_zero 0
		.amdhsa_exception_fp_ieee_overflow 0
		.amdhsa_exception_fp_ieee_underflow 0
		.amdhsa_exception_fp_ieee_inexact 0
		.amdhsa_exception_int_div_zero 0
	.end_amdhsa_kernel
	.section	.text._ZN9rocsparseL30bellmm_general_blockdim_kernelILi32ELi32EflfffEEv20rocsparse_operation_S1_20rocsparse_direction_T2_S3_NS_24const_host_device_scalarIT1_EES3_S3_PKS3_PKT3_PKT4_l16rocsparse_order_S6_PT5_lSF_21rocsparse_index_base_b,"axG",@progbits,_ZN9rocsparseL30bellmm_general_blockdim_kernelILi32ELi32EflfffEEv20rocsparse_operation_S1_20rocsparse_direction_T2_S3_NS_24const_host_device_scalarIT1_EES3_S3_PKS3_PKT3_PKT4_l16rocsparse_order_S6_PT5_lSF_21rocsparse_index_base_b,comdat
.Lfunc_end3:
	.size	_ZN9rocsparseL30bellmm_general_blockdim_kernelILi32ELi32EflfffEEv20rocsparse_operation_S1_20rocsparse_direction_T2_S3_NS_24const_host_device_scalarIT1_EES3_S3_PKS3_PKT3_PKT4_l16rocsparse_order_S6_PT5_lSF_21rocsparse_index_base_b, .Lfunc_end3-_ZN9rocsparseL30bellmm_general_blockdim_kernelILi32ELi32EflfffEEv20rocsparse_operation_S1_20rocsparse_direction_T2_S3_NS_24const_host_device_scalarIT1_EES3_S3_PKS3_PKT3_PKT4_l16rocsparse_order_S6_PT5_lSF_21rocsparse_index_base_b
                                        ; -- End function
	.set _ZN9rocsparseL30bellmm_general_blockdim_kernelILi32ELi32EflfffEEv20rocsparse_operation_S1_20rocsparse_direction_T2_S3_NS_24const_host_device_scalarIT1_EES3_S3_PKS3_PKT3_PKT4_l16rocsparse_order_S6_PT5_lSF_21rocsparse_index_base_b.num_vgpr, 52
	.set _ZN9rocsparseL30bellmm_general_blockdim_kernelILi32ELi32EflfffEEv20rocsparse_operation_S1_20rocsparse_direction_T2_S3_NS_24const_host_device_scalarIT1_EES3_S3_PKS3_PKT3_PKT4_l16rocsparse_order_S6_PT5_lSF_21rocsparse_index_base_b.num_agpr, 0
	.set _ZN9rocsparseL30bellmm_general_blockdim_kernelILi32ELi32EflfffEEv20rocsparse_operation_S1_20rocsparse_direction_T2_S3_NS_24const_host_device_scalarIT1_EES3_S3_PKS3_PKT3_PKT4_l16rocsparse_order_S6_PT5_lSF_21rocsparse_index_base_b.numbered_sgpr, 48
	.set _ZN9rocsparseL30bellmm_general_blockdim_kernelILi32ELi32EflfffEEv20rocsparse_operation_S1_20rocsparse_direction_T2_S3_NS_24const_host_device_scalarIT1_EES3_S3_PKS3_PKT3_PKT4_l16rocsparse_order_S6_PT5_lSF_21rocsparse_index_base_b.num_named_barrier, 0
	.set _ZN9rocsparseL30bellmm_general_blockdim_kernelILi32ELi32EflfffEEv20rocsparse_operation_S1_20rocsparse_direction_T2_S3_NS_24const_host_device_scalarIT1_EES3_S3_PKS3_PKT3_PKT4_l16rocsparse_order_S6_PT5_lSF_21rocsparse_index_base_b.private_seg_size, 0
	.set _ZN9rocsparseL30bellmm_general_blockdim_kernelILi32ELi32EflfffEEv20rocsparse_operation_S1_20rocsparse_direction_T2_S3_NS_24const_host_device_scalarIT1_EES3_S3_PKS3_PKT3_PKT4_l16rocsparse_order_S6_PT5_lSF_21rocsparse_index_base_b.uses_vcc, 1
	.set _ZN9rocsparseL30bellmm_general_blockdim_kernelILi32ELi32EflfffEEv20rocsparse_operation_S1_20rocsparse_direction_T2_S3_NS_24const_host_device_scalarIT1_EES3_S3_PKS3_PKT3_PKT4_l16rocsparse_order_S6_PT5_lSF_21rocsparse_index_base_b.uses_flat_scratch, 0
	.set _ZN9rocsparseL30bellmm_general_blockdim_kernelILi32ELi32EflfffEEv20rocsparse_operation_S1_20rocsparse_direction_T2_S3_NS_24const_host_device_scalarIT1_EES3_S3_PKS3_PKT3_PKT4_l16rocsparse_order_S6_PT5_lSF_21rocsparse_index_base_b.has_dyn_sized_stack, 0
	.set _ZN9rocsparseL30bellmm_general_blockdim_kernelILi32ELi32EflfffEEv20rocsparse_operation_S1_20rocsparse_direction_T2_S3_NS_24const_host_device_scalarIT1_EES3_S3_PKS3_PKT3_PKT4_l16rocsparse_order_S6_PT5_lSF_21rocsparse_index_base_b.has_recursion, 0
	.set _ZN9rocsparseL30bellmm_general_blockdim_kernelILi32ELi32EflfffEEv20rocsparse_operation_S1_20rocsparse_direction_T2_S3_NS_24const_host_device_scalarIT1_EES3_S3_PKS3_PKT3_PKT4_l16rocsparse_order_S6_PT5_lSF_21rocsparse_index_base_b.has_indirect_call, 0
	.section	.AMDGPU.csdata,"",@progbits
; Kernel info:
; codeLenInByte = 2488
; TotalNumSgprs: 50
; NumVgprs: 52
; ScratchSize: 0
; MemoryBound: 0
; FloatMode: 240
; IeeeMode: 1
; LDSByteSize: 8192 bytes/workgroup (compile time only)
; SGPRBlocks: 0
; VGPRBlocks: 3
; NumSGPRsForWavesPerEU: 50
; NumVGPRsForWavesPerEU: 52
; NamedBarCnt: 0
; Occupancy: 16
; WaveLimiterHint : 1
; COMPUTE_PGM_RSRC2:SCRATCH_EN: 0
; COMPUTE_PGM_RSRC2:USER_SGPR: 2
; COMPUTE_PGM_RSRC2:TRAP_HANDLER: 0
; COMPUTE_PGM_RSRC2:TGID_X_EN: 1
; COMPUTE_PGM_RSRC2:TGID_Y_EN: 1
; COMPUTE_PGM_RSRC2:TGID_Z_EN: 0
; COMPUTE_PGM_RSRC2:TIDIG_COMP_CNT: 1
	.section	.text._ZN9rocsparseL30bellmm_general_blockdim_kernelILi32ELi32EdidddEEv20rocsparse_operation_S1_20rocsparse_direction_T2_S3_NS_24const_host_device_scalarIT1_EES3_S3_PKS3_PKT3_PKT4_l16rocsparse_order_S6_PT5_lSF_21rocsparse_index_base_b,"axG",@progbits,_ZN9rocsparseL30bellmm_general_blockdim_kernelILi32ELi32EdidddEEv20rocsparse_operation_S1_20rocsparse_direction_T2_S3_NS_24const_host_device_scalarIT1_EES3_S3_PKS3_PKT3_PKT4_l16rocsparse_order_S6_PT5_lSF_21rocsparse_index_base_b,comdat
	.globl	_ZN9rocsparseL30bellmm_general_blockdim_kernelILi32ELi32EdidddEEv20rocsparse_operation_S1_20rocsparse_direction_T2_S3_NS_24const_host_device_scalarIT1_EES3_S3_PKS3_PKT3_PKT4_l16rocsparse_order_S6_PT5_lSF_21rocsparse_index_base_b ; -- Begin function _ZN9rocsparseL30bellmm_general_blockdim_kernelILi32ELi32EdidddEEv20rocsparse_operation_S1_20rocsparse_direction_T2_S3_NS_24const_host_device_scalarIT1_EES3_S3_PKS3_PKT3_PKT4_l16rocsparse_order_S6_PT5_lSF_21rocsparse_index_base_b
	.p2align	8
	.type	_ZN9rocsparseL30bellmm_general_blockdim_kernelILi32ELi32EdidddEEv20rocsparse_operation_S1_20rocsparse_direction_T2_S3_NS_24const_host_device_scalarIT1_EES3_S3_PKS3_PKT3_PKT4_l16rocsparse_order_S6_PT5_lSF_21rocsparse_index_base_b,@function
_ZN9rocsparseL30bellmm_general_blockdim_kernelILi32ELi32EdidddEEv20rocsparse_operation_S1_20rocsparse_direction_T2_S3_NS_24const_host_device_scalarIT1_EES3_S3_PKS3_PKT3_PKT4_l16rocsparse_order_S6_PT5_lSF_21rocsparse_index_base_b: ; @_ZN9rocsparseL30bellmm_general_blockdim_kernelILi32ELi32EdidddEEv20rocsparse_operation_S1_20rocsparse_direction_T2_S3_NS_24const_host_device_scalarIT1_EES3_S3_PKS3_PKT3_PKT4_l16rocsparse_order_S6_PT5_lSF_21rocsparse_index_base_b
; %bb.0:
	s_clause 0x2
	s_load_b96 s[20:22], s[0:1], 0x68
	s_load_b64 s[4:5], s[0:1], 0x18
	s_load_b64 s[2:3], s[0:1], 0x50
	s_wait_kmcnt 0x0
	s_bitcmp1_b32 s22, 0
	v_mov_b64_e32 v[2:3], s[4:5]
	s_cselect_b32 s6, -1, 0
	s_delay_alu instid0(SALU_CYCLE_1)
	s_and_b32 vcc_lo, exec_lo, s6
	s_xor_b32 s6, s6, -1
	s_cbranch_vccnz .LBB4_2
; %bb.1:
	v_mov_b32_e32 v1, 0
	flat_load_b64 v[2:3], v1, s[4:5]
.LBB4_2:
	v_mov_b64_e32 v[4:5], s[2:3]
	s_and_not1_b32 vcc_lo, exec_lo, s6
	s_cbranch_vccnz .LBB4_4
; %bb.3:
	s_wait_xcnt 0x0
	v_mov_b32_e32 v1, 0
	flat_load_b64 v[4:5], v1, s[2:3]
.LBB4_4:
	s_wait_loadcnt_dscnt 0x0
	v_cmp_neq_f64_e32 vcc_lo, 0, v[2:3]
	s_delay_alu instid0(VALU_DEP_2) | instskip(SKIP_1) | instid1(SALU_CYCLE_1)
	v_cmp_neq_f64_e64 s2, 1.0, v[4:5]
	s_or_b32 s2, vcc_lo, s2
	s_and_saveexec_b32 s3, s2
	s_cbranch_execz .LBB4_44
; %bb.5:
	s_clause 0x1
	s_load_b128 s[12:15], s[0:1], 0x4
	s_load_b64 s[2:3], s[0:1], 0x20
	s_bfe_u32 s4, ttmp6, 0x4000c
	s_and_b32 s5, ttmp6, 15
	s_add_co_i32 s4, s4, 1
	s_getreg_b32 s24, hwreg(HW_REG_IB_STS2, 6, 4)
	s_mul_i32 s4, ttmp9, s4
	s_mov_b32 s23, 0
	s_add_co_i32 s5, s5, s4
	s_cmp_eq_u32 s24, 0
	s_cselect_b32 s22, ttmp9, s5
	s_wait_kmcnt 0x0
	s_cmp_lt_i32 s22, s14
	s_cselect_b32 s27, -1, 0
	s_cmp_ge_i32 s22, s14
	s_cbranch_scc1 .LBB4_7
; %bb.6:
	s_abs_i32 s4, s3
	s_abs_i32 s7, s2
	s_cvt_f32_u32 s5, s4
	s_sub_co_i32 s6, 0, s4
	s_xor_b32 s2, s2, s3
	s_delay_alu instid0(SALU_CYCLE_1) | instskip(SKIP_2) | instid1(TRANS32_DEP_1)
	s_ashr_i32 s2, s2, 31
	v_rcp_iflag_f32_e32 v1, s5
	v_nop
	v_readfirstlane_b32 s5, v1
	s_mul_f32 s5, s5, 0x4f7ffffe
	s_delay_alu instid0(SALU_CYCLE_3) | instskip(NEXT) | instid1(SALU_CYCLE_3)
	s_cvt_u32_f32 s5, s5
	s_mul_i32 s6, s6, s5
	s_delay_alu instid0(SALU_CYCLE_1) | instskip(NEXT) | instid1(SALU_CYCLE_1)
	s_mul_hi_u32 s6, s5, s6
	s_add_co_i32 s5, s5, s6
	s_delay_alu instid0(SALU_CYCLE_1) | instskip(NEXT) | instid1(SALU_CYCLE_1)
	s_mul_hi_u32 s5, s7, s5
	s_mul_i32 s6, s5, s4
	s_delay_alu instid0(SALU_CYCLE_1)
	s_sub_co_i32 s6, s7, s6
	s_add_co_i32 s7, s5, 1
	s_sub_co_i32 s8, s6, s4
	s_cmp_ge_u32 s6, s4
	s_cselect_b32 s5, s7, s5
	s_cselect_b32 s6, s8, s6
	s_add_co_i32 s7, s5, 1
	s_cmp_ge_u32 s6, s4
	s_cselect_b32 s4, s7, s5
	s_delay_alu instid0(SALU_CYCLE_1) | instskip(NEXT) | instid1(SALU_CYCLE_1)
	s_xor_b32 s4, s4, s2
	s_sub_co_i32 s23, s4, s2
.LBB4_7:
	s_cmp_lt_i32 s3, 1
	s_cbranch_scc1 .LBB4_44
; %bb.8:
	s_bfe_u32 s2, ttmp6, 0x40010
	s_load_b256 s[4:11], s[0:1], 0x28
	s_add_co_i32 s2, s2, 1
	s_bfe_u32 s25, ttmp6, 0x40004
	s_mul_i32 s2, ttmp7, s2
	s_load_b128 s[16:19], s[0:1], 0x58
	v_bfe_u32 v20, v0, 10, 10
	s_add_co_i32 s25, s25, s2
	s_cmp_eq_u32 s24, 0
	v_and_b32_e32 v21, 0x3ff, v0
	s_cselect_b32 s2, ttmp7, s25
	s_wait_xcnt 0x0
	s_load_b32 s1, s[0:1], 0x48
	v_lshl_add_u32 v6, s2, 5, v20
	s_wait_xcnt 0x0
	v_cmp_neq_f64_e64 s0, 0, v[4:5]
	s_mul_i32 s25, s3, s22
	s_cmp_gt_i32 s23, 0
	v_dual_lshlrev_b32 v22, 3, v21 :: v_dual_ashrrev_i32 v7, 31, v6
	v_dual_add_nc_u32 v8, s25, v20 :: v_dual_lshlrev_b32 v23, 8, v20
	s_cselect_b32 s26, -1, 0
	s_cmp_eq_u32 s12, 0x6f
	s_wait_kmcnt 0x0
	v_mul_u64_e32 v[12:13], s[10:11], v[6:7]
	v_mul_lo_u32 v24, s3, v8
	v_or_b32_e32 v10, 0x2000, v22
	v_mul_u64_e32 v[0:1], s[18:19], v[6:7]
	s_cselect_b32 s28, -1, 0
	v_dual_mov_b32 v9, 0 :: v_dual_add_nc_u32 v25, v22, v23
	v_add_nc_u32_e32 v26, 0x800, v22
	v_add_nc_u32_e32 v27, 0x1000, v22
	s_cmp_lg_u32 s1, 1
	v_cmp_gt_i32_e64 s1, s15, v6
	s_cselect_b32 s29, -1, 0
	s_cmp_lg_u32 s13, 0
	v_add_nc_u32_e32 v28, v10, v23
	s_cselect_b32 s12, -1, 0
	s_cmp_lg_u32 s20, 1
	v_lshl_add_u64 v[10:11], v[6:7], 3, s[8:9]
	v_add_nc_u32_e32 v29, 0x1800, v22
	s_mul_i32 s2, s3, s3
	s_cselect_b32 s13, -1, 0
	s_xor_b32 s20, s28, s29
	s_mov_b32 s24, 0
	s_and_b32 s15, s27, s1
	v_lshl_add_u64 v[12:13], v[12:13], 3, s[8:9]
	s_xor_b32 s8, s20, -1
	s_mul_i32 s9, s2, s14
	s_lshl_b32 s20, s3, 5
	s_branch .LBB4_10
.LBB4_9:                                ;   in Loop: Header=BB4_10 Depth=1
	s_wait_xcnt 0x0
	s_or_b32 exec_lo, exec_lo, s2
	v_add_nc_u32_e32 v24, 32, v24
	s_add_co_i32 s24, s24, 32
	s_delay_alu instid0(SALU_CYCLE_1)
	s_cmp_lt_i32 s24, s3
	s_cbranch_scc0 .LBB4_44
.LBB4_10:                               ; =>This Loop Header: Depth=1
                                        ;     Child Loop BB4_13 Depth 2
                                        ;       Child Loop BB4_15 Depth 3
	v_add_nc_u32_e32 v30, s24, v21
	v_mov_b64_e32 v[14:15], 0
	s_and_not1_b32 vcc_lo, exec_lo, s26
	s_delay_alu instid0(VALU_DEP_2)
	v_cmp_gt_i32_e64 s2, s3, v30
	s_cbranch_vccnz .LBB4_35
; %bb.11:                               ;   in Loop: Header=BB4_10 Depth=1
	v_mov_b32_e32 v18, v24
	s_mov_b32 s27, 0
	s_branch .LBB4_13
.LBB4_12:                               ;   in Loop: Header=BB4_13 Depth=2
	v_add_nc_u32_e32 v18, s9, v18
	s_add_co_i32 s27, s27, 1
	s_delay_alu instid0(SALU_CYCLE_1)
	s_cmp_eq_u32 s27, s23
	s_cbranch_scc1 .LBB4_35
.LBB4_13:                               ;   Parent Loop BB4_10 Depth=1
                                        ; =>  This Loop Header: Depth=2
                                        ;       Child Loop BB4_15 Depth 3
	s_mul_i32 s28, s27, s14
	s_delay_alu instid0(VALU_DEP_1) | instskip(SKIP_1) | instid1(SALU_CYCLE_1)
	v_add_nc_u32_e32 v32, v21, v18
	s_add_co_i32 s28, s28, s22
	s_ashr_i32 s29, s28, 31
	v_mad_u32 v8, s28, s3, v30
	s_lshl_b64 s[30:31], s[28:29], 2
	s_delay_alu instid0(SALU_CYCLE_1) | instskip(SKIP_3) | instid1(VALU_DEP_1)
	s_add_nc_u64 s[30:31], s[4:5], s[30:31]
	s_load_b32 s29, s[30:31], 0x0
	s_wait_xcnt 0x0
	s_mov_b32 s30, 0
	v_mul_lo_u32 v19, v8, s3
	s_wait_kmcnt 0x0
	s_sub_co_i32 s28, s29, s21
	s_mov_b32 s29, 0
	v_mad_u32 v31, s28, s3, v21
	s_cmp_gt_i32 s28, -1
	s_cselect_b32 s28, -1, 0
	s_branch .LBB4_15
.LBB4_14:                               ;   in Loop: Header=BB4_15 Depth=3
	s_add_co_i32 s30, s30, 32
	s_add_co_i32 s29, s29, s20
	s_cmp_ge_i32 s30, s3
	s_barrier_signal -1
	s_barrier_wait -1
	s_cbranch_scc1 .LBB4_12
.LBB4_15:                               ;   Parent Loop BB4_10 Depth=1
                                        ;     Parent Loop BB4_13 Depth=2
                                        ; =>    This Inner Loop Header: Depth=3
	v_add_nc_u32_e32 v8, s30, v21
	s_mov_b32 s33, -1
                                        ; implicit-def: $vgpr16_vgpr17
	s_delay_alu instid0(VALU_DEP_1)
	v_cmp_gt_i32_e32 vcc_lo, s3, v8
	s_and_b32 s31, s1, vcc_lo
	s_and_b32 vcc_lo, exec_lo, s8
	s_and_b32 s31, s31, s28
	s_cbranch_vccz .LBB4_19
; %bb.16:                               ;   in Loop: Header=BB4_15 Depth=3
	v_mov_b64_e32 v[16:17], 0
	s_and_saveexec_b32 s33, s31
	s_cbranch_execz .LBB4_18
; %bb.17:                               ;   in Loop: Header=BB4_15 Depth=3
	v_add_nc_u32_e32 v8, s30, v31
	s_delay_alu instid0(VALU_DEP_1) | instskip(NEXT) | instid1(VALU_DEP_1)
	v_mul_u64_e32 v[16:17], s[10:11], v[8:9]
	v_lshl_add_u64 v[16:17], v[16:17], 3, v[10:11]
	global_load_b64 v[16:17], v[16:17], off
.LBB4_18:                               ;   in Loop: Header=BB4_15 Depth=3
	s_wait_xcnt 0x0
	s_or_b32 exec_lo, exec_lo, s33
	s_mov_b32 s33, 0
.LBB4_19:                               ;   in Loop: Header=BB4_15 Depth=3
	s_delay_alu instid0(SALU_CYCLE_1)
	s_and_not1_b32 vcc_lo, exec_lo, s33
	s_cbranch_vccnz .LBB4_23
; %bb.20:                               ;   in Loop: Header=BB4_15 Depth=3
	s_wait_loadcnt 0x0
	v_mov_b64_e32 v[16:17], 0
	s_and_saveexec_b32 s33, s31
	s_cbranch_execz .LBB4_22
; %bb.21:                               ;   in Loop: Header=BB4_15 Depth=3
	v_add_nc_u32_e32 v8, s30, v31
	s_delay_alu instid0(VALU_DEP_1)
	v_lshl_add_u64 v[16:17], v[8:9], 3, v[12:13]
	global_load_b64 v[16:17], v[16:17], off
.LBB4_22:                               ;   in Loop: Header=BB4_15 Depth=3
	s_wait_xcnt 0x0
	s_or_b32 exec_lo, exec_lo, s33
.LBB4_23:                               ;   in Loop: Header=BB4_15 Depth=3
	v_add_nc_u32_e32 v33, s30, v20
	s_wait_loadcnt 0x0
	ds_store_b64 v28, v[16:17]
	v_cmp_gt_i32_e32 vcc_lo, s3, v33
	s_and_b32 s31, s2, vcc_lo
	s_and_b32 vcc_lo, exec_lo, s12
	s_and_b32 s33, s31, s28
	s_cbranch_vccz .LBB4_31
; %bb.24:                               ;   in Loop: Header=BB4_15 Depth=3
	s_mov_b32 s34, 0
	s_mov_b32 s31, 0
                                        ; implicit-def: $vgpr8
	s_and_saveexec_b32 s35, s33
	s_delay_alu instid0(SALU_CYCLE_1)
	s_xor_b32 s35, exec_lo, s35
; %bb.25:                               ;   in Loop: Header=BB4_15 Depth=3
	s_mov_b32 s31, exec_lo
	v_add_nc_u32_e32 v8, s29, v32
; %bb.26:                               ;   in Loop: Header=BB4_15 Depth=3
	s_or_b32 exec_lo, exec_lo, s35
	s_delay_alu instid0(SALU_CYCLE_1)
	s_and_b32 vcc_lo, exec_lo, s34
	s_cbranch_vccnz .LBB4_32
.LBB4_27:                               ;   in Loop: Header=BB4_15 Depth=3
	v_mov_b64_e32 v[16:17], 0
	s_and_saveexec_b32 s33, s31
	s_cbranch_execz .LBB4_29
.LBB4_28:                               ;   in Loop: Header=BB4_15 Depth=3
	global_load_b64 v[16:17], v8, s[6:7] scale_offset
.LBB4_29:                               ;   in Loop: Header=BB4_15 Depth=3
	s_wait_xcnt 0x0
	s_or_b32 exec_lo, exec_lo, s33
	s_delay_alu instid0(SALU_CYCLE_1)
	s_and_not1_b32 vcc_lo, exec_lo, s28
	s_wait_loadcnt 0x0
	ds_store_b64 v25, v[16:17]
	s_wait_dscnt 0x0
	s_barrier_signal -1
	s_barrier_wait -1
	s_cbranch_vccnz .LBB4_14
; %bb.30:                               ;   in Loop: Header=BB4_15 Depth=3
	ds_load_2addr_b64 v[34:37], v22 offset1:32
	ds_load_b128 v[38:41], v23 offset:8192
	ds_load_b128 v[42:45], v23 offset:8208
	s_wait_dscnt 0x1
	v_fmac_f64_e32 v[14:15], v[34:35], v[38:39]
	s_delay_alu instid0(VALU_DEP_1) | instskip(SKIP_3) | instid1(VALU_DEP_1)
	v_fmac_f64_e32 v[14:15], v[36:37], v[40:41]
	ds_load_2addr_b64 v[34:37], v22 offset0:64 offset1:96
	s_wait_dscnt 0x0
	v_fmac_f64_e32 v[14:15], v[34:35], v[42:43]
	v_fmac_f64_e32 v[14:15], v[36:37], v[44:45]
	ds_load_2addr_b64 v[34:37], v22 offset0:128 offset1:160
	ds_load_b128 v[38:41], v23 offset:8224
	ds_load_b128 v[42:45], v23 offset:8240
	s_wait_dscnt 0x1
	v_fmac_f64_e32 v[14:15], v[34:35], v[38:39]
	s_delay_alu instid0(VALU_DEP_1) | instskip(SKIP_3) | instid1(VALU_DEP_1)
	v_fmac_f64_e32 v[14:15], v[36:37], v[40:41]
	ds_load_2addr_b64 v[34:37], v22 offset0:192 offset1:224
	s_wait_dscnt 0x0
	v_fmac_f64_e32 v[14:15], v[34:35], v[42:43]
	v_fmac_f64_e32 v[14:15], v[36:37], v[44:45]
	ds_load_2addr_b64 v[34:37], v26 offset1:32
	ds_load_b128 v[38:41], v23 offset:8256
	ds_load_b128 v[42:45], v23 offset:8272
	s_wait_dscnt 0x1
	v_fmac_f64_e32 v[14:15], v[34:35], v[38:39]
	s_delay_alu instid0(VALU_DEP_1) | instskip(SKIP_3) | instid1(VALU_DEP_1)
	v_fmac_f64_e32 v[14:15], v[36:37], v[40:41]
	ds_load_2addr_b64 v[34:37], v26 offset0:64 offset1:96
	s_wait_dscnt 0x0
	v_fmac_f64_e32 v[14:15], v[34:35], v[42:43]
	v_fmac_f64_e32 v[14:15], v[36:37], v[44:45]
	ds_load_2addr_b64 v[34:37], v26 offset0:128 offset1:160
	ds_load_b128 v[38:41], v23 offset:8288
	ds_load_b128 v[42:45], v23 offset:8304
	s_wait_dscnt 0x1
	v_fmac_f64_e32 v[14:15], v[34:35], v[38:39]
	s_delay_alu instid0(VALU_DEP_1) | instskip(SKIP_3) | instid1(VALU_DEP_1)
	v_fmac_f64_e32 v[14:15], v[36:37], v[40:41]
	ds_load_2addr_b64 v[34:37], v26 offset0:192 offset1:224
	s_wait_dscnt 0x0
	v_fmac_f64_e32 v[14:15], v[34:35], v[42:43]
	v_fmac_f64_e32 v[14:15], v[36:37], v[44:45]
	;; [unrolled: 22-line block ×4, first 2 shown]
	s_branch .LBB4_14
.LBB4_31:                               ;   in Loop: Header=BB4_15 Depth=3
	s_mov_b32 s31, 0
                                        ; implicit-def: $vgpr8
	s_cbranch_execz .LBB4_27
.LBB4_32:                               ;   in Loop: Header=BB4_15 Depth=3
                                        ; implicit-def: $vgpr8
	s_and_saveexec_b32 s34, s33
; %bb.33:                               ;   in Loop: Header=BB4_15 Depth=3
	v_add_nc_u32_e32 v8, v33, v19
	s_or_b32 s31, s31, exec_lo
; %bb.34:                               ;   in Loop: Header=BB4_15 Depth=3
	s_or_b32 exec_lo, exec_lo, s34
	v_mov_b64_e32 v[16:17], 0
	s_and_saveexec_b32 s33, s31
	s_cbranch_execnz .LBB4_28
	s_branch .LBB4_29
.LBB4_35:                               ;   in Loop: Header=BB4_10 Depth=1
	v_add_nc_u32_e32 v18, s25, v30
	s_and_b32 vcc_lo, exec_lo, s13
	s_mov_b32 s2, -1
                                        ; implicit-def: $vgpr16_vgpr17
	s_delay_alu instid0(VALU_DEP_1)
	v_ashrrev_i32_e32 v19, 31, v18
	s_cbranch_vccnz .LBB4_38
; %bb.36:                               ;   in Loop: Header=BB4_10 Depth=1
	s_and_not1_b32 vcc_lo, exec_lo, s2
	s_cbranch_vccz .LBB4_39
.LBB4_37:                               ;   in Loop: Header=BB4_10 Depth=1
	v_cmp_gt_i32_e32 vcc_lo, s3, v30
	s_and_b32 s27, s15, vcc_lo
	s_delay_alu instid0(SALU_CYCLE_1)
	s_and_saveexec_b32 s2, s27
	s_cbranch_execz .LBB4_9
	s_branch .LBB4_40
.LBB4_38:                               ;   in Loop: Header=BB4_10 Depth=1
	v_mad_nc_u64_u32 v[16:17], s18, v18, v[6:7]
	s_delay_alu instid0(VALU_DEP_1) | instskip(NEXT) | instid1(VALU_DEP_1)
	v_mad_u32 v8, s19, v18, v17
	v_mad_u32 v17, s18, v19, v8
	s_cbranch_execnz .LBB4_37
.LBB4_39:                               ;   in Loop: Header=BB4_10 Depth=1
	s_delay_alu instid0(VALU_DEP_1) | instskip(SKIP_2) | instid1(SALU_CYCLE_1)
	v_add_nc_u64_e32 v[16:17], v[0:1], v[18:19]
	v_cmp_gt_i32_e32 vcc_lo, s3, v30
	s_and_b32 s27, s15, vcc_lo
	s_and_saveexec_b32 s2, s27
	s_cbranch_execz .LBB4_9
.LBB4_40:                               ;   in Loop: Header=BB4_10 Depth=1
	v_mul_f64_e32 v[18:19], v[2:3], v[14:15]
	s_delay_alu instid0(VALU_DEP_3) | instskip(SKIP_1) | instid1(SALU_CYCLE_1)
	v_lshl_add_u64 v[14:15], v[16:17], 3, s[16:17]
	s_and_saveexec_b32 s27, s0
	s_xor_b32 s27, exec_lo, s27
	s_cbranch_execz .LBB4_42
; %bb.41:                               ;   in Loop: Header=BB4_10 Depth=1
	global_load_b64 v[16:17], v[14:15], off
	s_wait_loadcnt 0x0
	v_fmac_f64_e32 v[18:19], v[4:5], v[16:17]
	global_store_b64 v[14:15], v[18:19], off
                                        ; implicit-def: $vgpr14_vgpr15
                                        ; implicit-def: $vgpr18_vgpr19
.LBB4_42:                               ;   in Loop: Header=BB4_10 Depth=1
	s_wait_xcnt 0x0
	s_and_not1_saveexec_b32 s27, s27
	s_cbranch_execz .LBB4_9
; %bb.43:                               ;   in Loop: Header=BB4_10 Depth=1
	global_store_b64 v[14:15], v[18:19], off
	s_branch .LBB4_9
.LBB4_44:
	s_endpgm
	.section	.rodata,"a",@progbits
	.p2align	6, 0x0
	.amdhsa_kernel _ZN9rocsparseL30bellmm_general_blockdim_kernelILi32ELi32EdidddEEv20rocsparse_operation_S1_20rocsparse_direction_T2_S3_NS_24const_host_device_scalarIT1_EES3_S3_PKS3_PKT3_PKT4_l16rocsparse_order_S6_PT5_lSF_21rocsparse_index_base_b
		.amdhsa_group_segment_fixed_size 16384
		.amdhsa_private_segment_fixed_size 0
		.amdhsa_kernarg_size 116
		.amdhsa_user_sgpr_count 2
		.amdhsa_user_sgpr_dispatch_ptr 0
		.amdhsa_user_sgpr_queue_ptr 0
		.amdhsa_user_sgpr_kernarg_segment_ptr 1
		.amdhsa_user_sgpr_dispatch_id 0
		.amdhsa_user_sgpr_kernarg_preload_length 0
		.amdhsa_user_sgpr_kernarg_preload_offset 0
		.amdhsa_user_sgpr_private_segment_size 0
		.amdhsa_wavefront_size32 1
		.amdhsa_uses_dynamic_stack 0
		.amdhsa_enable_private_segment 0
		.amdhsa_system_sgpr_workgroup_id_x 1
		.amdhsa_system_sgpr_workgroup_id_y 1
		.amdhsa_system_sgpr_workgroup_id_z 0
		.amdhsa_system_sgpr_workgroup_info 0
		.amdhsa_system_vgpr_workitem_id 1
		.amdhsa_next_free_vgpr 46
		.amdhsa_next_free_sgpr 36
		.amdhsa_named_barrier_count 0
		.amdhsa_reserve_vcc 1
		.amdhsa_float_round_mode_32 0
		.amdhsa_float_round_mode_16_64 0
		.amdhsa_float_denorm_mode_32 3
		.amdhsa_float_denorm_mode_16_64 3
		.amdhsa_fp16_overflow 0
		.amdhsa_memory_ordered 1
		.amdhsa_forward_progress 1
		.amdhsa_inst_pref_size 15
		.amdhsa_round_robin_scheduling 0
		.amdhsa_exception_fp_ieee_invalid_op 0
		.amdhsa_exception_fp_denorm_src 0
		.amdhsa_exception_fp_ieee_div_zero 0
		.amdhsa_exception_fp_ieee_overflow 0
		.amdhsa_exception_fp_ieee_underflow 0
		.amdhsa_exception_fp_ieee_inexact 0
		.amdhsa_exception_int_div_zero 0
	.end_amdhsa_kernel
	.section	.text._ZN9rocsparseL30bellmm_general_blockdim_kernelILi32ELi32EdidddEEv20rocsparse_operation_S1_20rocsparse_direction_T2_S3_NS_24const_host_device_scalarIT1_EES3_S3_PKS3_PKT3_PKT4_l16rocsparse_order_S6_PT5_lSF_21rocsparse_index_base_b,"axG",@progbits,_ZN9rocsparseL30bellmm_general_blockdim_kernelILi32ELi32EdidddEEv20rocsparse_operation_S1_20rocsparse_direction_T2_S3_NS_24const_host_device_scalarIT1_EES3_S3_PKS3_PKT3_PKT4_l16rocsparse_order_S6_PT5_lSF_21rocsparse_index_base_b,comdat
.Lfunc_end4:
	.size	_ZN9rocsparseL30bellmm_general_blockdim_kernelILi32ELi32EdidddEEv20rocsparse_operation_S1_20rocsparse_direction_T2_S3_NS_24const_host_device_scalarIT1_EES3_S3_PKS3_PKT3_PKT4_l16rocsparse_order_S6_PT5_lSF_21rocsparse_index_base_b, .Lfunc_end4-_ZN9rocsparseL30bellmm_general_blockdim_kernelILi32ELi32EdidddEEv20rocsparse_operation_S1_20rocsparse_direction_T2_S3_NS_24const_host_device_scalarIT1_EES3_S3_PKS3_PKT3_PKT4_l16rocsparse_order_S6_PT5_lSF_21rocsparse_index_base_b
                                        ; -- End function
	.set _ZN9rocsparseL30bellmm_general_blockdim_kernelILi32ELi32EdidddEEv20rocsparse_operation_S1_20rocsparse_direction_T2_S3_NS_24const_host_device_scalarIT1_EES3_S3_PKS3_PKT3_PKT4_l16rocsparse_order_S6_PT5_lSF_21rocsparse_index_base_b.num_vgpr, 46
	.set _ZN9rocsparseL30bellmm_general_blockdim_kernelILi32ELi32EdidddEEv20rocsparse_operation_S1_20rocsparse_direction_T2_S3_NS_24const_host_device_scalarIT1_EES3_S3_PKS3_PKT3_PKT4_l16rocsparse_order_S6_PT5_lSF_21rocsparse_index_base_b.num_agpr, 0
	.set _ZN9rocsparseL30bellmm_general_blockdim_kernelILi32ELi32EdidddEEv20rocsparse_operation_S1_20rocsparse_direction_T2_S3_NS_24const_host_device_scalarIT1_EES3_S3_PKS3_PKT3_PKT4_l16rocsparse_order_S6_PT5_lSF_21rocsparse_index_base_b.numbered_sgpr, 36
	.set _ZN9rocsparseL30bellmm_general_blockdim_kernelILi32ELi32EdidddEEv20rocsparse_operation_S1_20rocsparse_direction_T2_S3_NS_24const_host_device_scalarIT1_EES3_S3_PKS3_PKT3_PKT4_l16rocsparse_order_S6_PT5_lSF_21rocsparse_index_base_b.num_named_barrier, 0
	.set _ZN9rocsparseL30bellmm_general_blockdim_kernelILi32ELi32EdidddEEv20rocsparse_operation_S1_20rocsparse_direction_T2_S3_NS_24const_host_device_scalarIT1_EES3_S3_PKS3_PKT3_PKT4_l16rocsparse_order_S6_PT5_lSF_21rocsparse_index_base_b.private_seg_size, 0
	.set _ZN9rocsparseL30bellmm_general_blockdim_kernelILi32ELi32EdidddEEv20rocsparse_operation_S1_20rocsparse_direction_T2_S3_NS_24const_host_device_scalarIT1_EES3_S3_PKS3_PKT3_PKT4_l16rocsparse_order_S6_PT5_lSF_21rocsparse_index_base_b.uses_vcc, 1
	.set _ZN9rocsparseL30bellmm_general_blockdim_kernelILi32ELi32EdidddEEv20rocsparse_operation_S1_20rocsparse_direction_T2_S3_NS_24const_host_device_scalarIT1_EES3_S3_PKS3_PKT3_PKT4_l16rocsparse_order_S6_PT5_lSF_21rocsparse_index_base_b.uses_flat_scratch, 0
	.set _ZN9rocsparseL30bellmm_general_blockdim_kernelILi32ELi32EdidddEEv20rocsparse_operation_S1_20rocsparse_direction_T2_S3_NS_24const_host_device_scalarIT1_EES3_S3_PKS3_PKT3_PKT4_l16rocsparse_order_S6_PT5_lSF_21rocsparse_index_base_b.has_dyn_sized_stack, 0
	.set _ZN9rocsparseL30bellmm_general_blockdim_kernelILi32ELi32EdidddEEv20rocsparse_operation_S1_20rocsparse_direction_T2_S3_NS_24const_host_device_scalarIT1_EES3_S3_PKS3_PKT3_PKT4_l16rocsparse_order_S6_PT5_lSF_21rocsparse_index_base_b.has_recursion, 0
	.set _ZN9rocsparseL30bellmm_general_blockdim_kernelILi32ELi32EdidddEEv20rocsparse_operation_S1_20rocsparse_direction_T2_S3_NS_24const_host_device_scalarIT1_EES3_S3_PKS3_PKT3_PKT4_l16rocsparse_order_S6_PT5_lSF_21rocsparse_index_base_b.has_indirect_call, 0
	.section	.AMDGPU.csdata,"",@progbits
; Kernel info:
; codeLenInByte = 1896
; TotalNumSgprs: 38
; NumVgprs: 46
; ScratchSize: 0
; MemoryBound: 0
; FloatMode: 240
; IeeeMode: 1
; LDSByteSize: 16384 bytes/workgroup (compile time only)
; SGPRBlocks: 0
; VGPRBlocks: 2
; NumSGPRsForWavesPerEU: 38
; NumVGPRsForWavesPerEU: 46
; NamedBarCnt: 0
; Occupancy: 16
; WaveLimiterHint : 1
; COMPUTE_PGM_RSRC2:SCRATCH_EN: 0
; COMPUTE_PGM_RSRC2:USER_SGPR: 2
; COMPUTE_PGM_RSRC2:TRAP_HANDLER: 0
; COMPUTE_PGM_RSRC2:TGID_X_EN: 1
; COMPUTE_PGM_RSRC2:TGID_Y_EN: 1
; COMPUTE_PGM_RSRC2:TGID_Z_EN: 0
; COMPUTE_PGM_RSRC2:TIDIG_COMP_CNT: 1
	.section	.text._ZN9rocsparseL30bellmm_general_blockdim_kernelILi32ELi32EdldddEEv20rocsparse_operation_S1_20rocsparse_direction_T2_S3_NS_24const_host_device_scalarIT1_EES3_S3_PKS3_PKT3_PKT4_l16rocsparse_order_S6_PT5_lSF_21rocsparse_index_base_b,"axG",@progbits,_ZN9rocsparseL30bellmm_general_blockdim_kernelILi32ELi32EdldddEEv20rocsparse_operation_S1_20rocsparse_direction_T2_S3_NS_24const_host_device_scalarIT1_EES3_S3_PKS3_PKT3_PKT4_l16rocsparse_order_S6_PT5_lSF_21rocsparse_index_base_b,comdat
	.globl	_ZN9rocsparseL30bellmm_general_blockdim_kernelILi32ELi32EdldddEEv20rocsparse_operation_S1_20rocsparse_direction_T2_S3_NS_24const_host_device_scalarIT1_EES3_S3_PKS3_PKT3_PKT4_l16rocsparse_order_S6_PT5_lSF_21rocsparse_index_base_b ; -- Begin function _ZN9rocsparseL30bellmm_general_blockdim_kernelILi32ELi32EdldddEEv20rocsparse_operation_S1_20rocsparse_direction_T2_S3_NS_24const_host_device_scalarIT1_EES3_S3_PKS3_PKT3_PKT4_l16rocsparse_order_S6_PT5_lSF_21rocsparse_index_base_b
	.p2align	8
	.type	_ZN9rocsparseL30bellmm_general_blockdim_kernelILi32ELi32EdldddEEv20rocsparse_operation_S1_20rocsparse_direction_T2_S3_NS_24const_host_device_scalarIT1_EES3_S3_PKS3_PKT3_PKT4_l16rocsparse_order_S6_PT5_lSF_21rocsparse_index_base_b,@function
_ZN9rocsparseL30bellmm_general_blockdim_kernelILi32ELi32EdldddEEv20rocsparse_operation_S1_20rocsparse_direction_T2_S3_NS_24const_host_device_scalarIT1_EES3_S3_PKS3_PKT3_PKT4_l16rocsparse_order_S6_PT5_lSF_21rocsparse_index_base_b: ; @_ZN9rocsparseL30bellmm_general_blockdim_kernelILi32ELi32EdldddEEv20rocsparse_operation_S1_20rocsparse_direction_T2_S3_NS_24const_host_device_scalarIT1_EES3_S3_PKS3_PKT3_PKT4_l16rocsparse_order_S6_PT5_lSF_21rocsparse_index_base_b
; %bb.0:
	s_clause 0x2
	s_load_b96 s[20:22], s[0:1], 0x78
	s_load_b256 s[4:11], s[0:1], 0x10
	s_load_b64 s[2:3], s[0:1], 0x60
	s_wait_kmcnt 0x0
	s_bitcmp1_b32 s22, 0
	v_mov_b64_e32 v[2:3], s[8:9]
	s_cselect_b32 s12, -1, 0
	s_delay_alu instid0(SALU_CYCLE_1)
	s_and_b32 vcc_lo, exec_lo, s12
	s_xor_b32 s12, s12, -1
	s_cbranch_vccnz .LBB5_2
; %bb.1:
	v_mov_b32_e32 v1, 0
	flat_load_b64 v[2:3], v1, s[8:9]
.LBB5_2:
	v_mov_b64_e32 v[4:5], s[2:3]
	s_and_not1_b32 vcc_lo, exec_lo, s12
	s_cbranch_vccnz .LBB5_4
; %bb.3:
	s_wait_xcnt 0x0
	v_mov_b32_e32 v1, 0
	flat_load_b64 v[4:5], v1, s[2:3]
.LBB5_4:
	s_wait_loadcnt_dscnt 0x0
	v_cmp_neq_f64_e32 vcc_lo, 0, v[2:3]
	s_delay_alu instid0(VALU_DEP_2) | instskip(SKIP_2) | instid1(SALU_CYCLE_1)
	v_cmp_neq_f64_e64 s2, 1.0, v[4:5]
	s_mov_b64 s[26:27], 0
	s_or_b32 s2, vcc_lo, s2
	s_and_saveexec_b32 s3, s2
	s_cbranch_execz .LBB5_44
; %bb.5:
	s_bfe_u32 s2, ttmp6, 0x4000c
	s_load_b64 s[22:23], s[0:1], 0x30
	s_add_co_i32 s2, s2, 1
	s_and_b32 s3, ttmp6, 15
	s_mul_i32 s2, ttmp9, s2
	s_getreg_b32 s28, hwreg(HW_REG_IB_STS2, 6, 4)
	s_add_co_i32 s3, s3, s2
	s_cmp_eq_u32 s28, 0
	s_mov_b32 s25, 0
	s_cselect_b32 s24, ttmp9, s3
	s_delay_alu instid0(SALU_CYCLE_1)
	v_cmp_le_i64_e64 s2, s[4:5], s[24:25]
	v_cmp_gt_i64_e64 s36, s[4:5], s[24:25]
	s_and_b32 vcc_lo, exec_lo, s2
	s_cbranch_vccnz .LBB5_9
; %bb.6:
	s_wait_kmcnt 0x0
	s_or_b64 s[2:3], s[10:11], s[22:23]
	s_delay_alu instid0(SALU_CYCLE_1) | instskip(NEXT) | instid1(SALU_CYCLE_1)
	s_and_b64 s[2:3], s[2:3], 0xffffffff00000000
	s_cmp_lg_u64 s[2:3], 0
	s_cbranch_scc0 .LBB5_45
; %bb.7:
	s_ashr_i32 s2, s23, 31
	s_delay_alu instid0(SALU_CYCLE_1) | instskip(NEXT) | instid1(SALU_CYCLE_1)
	s_mov_b32 s3, s2
	s_add_nc_u64 s[8:9], s[22:23], s[2:3]
	s_delay_alu instid0(SALU_CYCLE_1) | instskip(NEXT) | instid1(SALU_CYCLE_1)
	s_xor_b64 s[8:9], s[8:9], s[2:3]
	s_cvt_f32_u32 s12, s8
	s_cvt_f32_u32 s13, s9
	s_sub_nc_u64 s[16:17], 0, s[8:9]
	s_delay_alu instid0(SALU_CYCLE_2) | instskip(NEXT) | instid1(SALU_CYCLE_3)
	s_fmamk_f32 s12, s13, 0x4f800000, s12
	v_s_rcp_f32 s12, s12
	s_delay_alu instid0(TRANS32_DEP_1) | instskip(NEXT) | instid1(SALU_CYCLE_3)
	s_mul_f32 s12, s12, 0x5f7ffffc
	s_mul_f32 s13, s12, 0x2f800000
	s_delay_alu instid0(SALU_CYCLE_3) | instskip(NEXT) | instid1(SALU_CYCLE_3)
	s_trunc_f32 s13, s13
	s_fmamk_f32 s12, s13, 0xcf800000, s12
	s_cvt_u32_f32 s15, s13
	s_mov_b32 s13, 0
	s_delay_alu instid0(SALU_CYCLE_1) | instskip(NEXT) | instid1(SALU_CYCLE_3)
	s_cvt_u32_f32 s14, s12
	s_mul_u64 s[18:19], s[16:17], s[14:15]
	s_delay_alu instid0(SALU_CYCLE_1)
	s_mul_hi_u32 s27, s14, s19
	s_mul_i32 s26, s14, s19
	s_mul_hi_u32 s12, s14, s18
	s_mul_i32 s30, s15, s18
	s_add_nc_u64 s[26:27], s[12:13], s[26:27]
	s_mul_hi_u32 s29, s15, s18
	s_mul_hi_u32 s31, s15, s19
	s_add_co_u32 s12, s26, s30
	s_add_co_ci_u32 s12, s27, s29
	s_mul_i32 s18, s15, s19
	s_add_co_ci_u32 s19, s31, 0
	s_delay_alu instid0(SALU_CYCLE_1) | instskip(NEXT) | instid1(SALU_CYCLE_1)
	s_add_nc_u64 s[18:19], s[12:13], s[18:19]
	s_add_co_u32 s14, s14, s18
	s_cselect_b32 s12, -1, 0
	s_delay_alu instid0(SALU_CYCLE_1) | instskip(SKIP_1) | instid1(SALU_CYCLE_1)
	s_cmp_lg_u32 s12, 0
	s_add_co_ci_u32 s15, s15, s19
	s_mul_u64 s[16:17], s[16:17], s[14:15]
	s_delay_alu instid0(SALU_CYCLE_1)
	s_mul_hi_u32 s19, s14, s17
	s_mul_i32 s18, s14, s17
	s_mul_hi_u32 s12, s14, s16
	s_mul_i32 s27, s15, s16
	s_add_nc_u64 s[18:19], s[12:13], s[18:19]
	s_mul_hi_u32 s26, s15, s16
	s_mul_hi_u32 s29, s15, s17
	s_add_co_u32 s12, s18, s27
	s_add_co_ci_u32 s12, s19, s26
	s_mul_i32 s16, s15, s17
	s_add_co_ci_u32 s17, s29, 0
	s_delay_alu instid0(SALU_CYCLE_1) | instskip(NEXT) | instid1(SALU_CYCLE_1)
	s_add_nc_u64 s[16:17], s[12:13], s[16:17]
	s_add_co_u32 s26, s14, s16
	s_cselect_b32 s12, -1, 0
	s_delay_alu instid0(SALU_CYCLE_1) | instskip(SKIP_2) | instid1(SALU_CYCLE_1)
	s_cmp_lg_u32 s12, 0
	s_add_co_ci_u32 s27, s15, s17
	s_ashr_i32 s14, s11, 31
	s_mov_b32 s15, s14
	s_delay_alu instid0(SALU_CYCLE_1) | instskip(NEXT) | instid1(SALU_CYCLE_1)
	s_add_nc_u64 s[16:17], s[10:11], s[14:15]
	s_xor_b64 s[16:17], s[16:17], s[14:15]
	s_delay_alu instid0(SALU_CYCLE_1)
	s_mul_hi_u32 s19, s16, s27
	s_mul_i32 s18, s16, s27
	s_mul_hi_u32 s12, s16, s26
	s_mul_i32 s30, s17, s26
	s_add_nc_u64 s[18:19], s[12:13], s[18:19]
	s_mul_hi_u32 s29, s17, s26
	s_mul_hi_u32 s11, s17, s27
	s_add_co_u32 s12, s18, s30
	s_add_co_ci_u32 s12, s19, s29
	s_mul_i32 s26, s17, s27
	s_add_co_ci_u32 s27, s11, 0
	s_delay_alu instid0(SALU_CYCLE_1) | instskip(NEXT) | instid1(SALU_CYCLE_1)
	s_add_nc_u64 s[18:19], s[12:13], s[26:27]
	s_and_b64 s[26:27], s[18:19], 0xffffffff00000000
	s_delay_alu instid0(SALU_CYCLE_1) | instskip(NEXT) | instid1(SALU_CYCLE_1)
	s_or_b32 s26, s26, s18
	s_mul_u64 s[18:19], s[8:9], s[26:27]
	s_add_nc_u64 s[30:31], s[26:27], 1
	s_sub_co_u32 s11, s16, s18
	s_cselect_b32 s12, -1, 0
	s_sub_co_i32 s16, s17, s19
	s_cmp_lg_u32 s12, 0
	s_add_nc_u64 s[34:35], s[26:27], 2
	s_sub_co_ci_u32 s16, s16, s9
	s_sub_co_u32 s18, s11, s8
	s_cselect_b32 s29, -1, 0
	s_delay_alu instid0(SALU_CYCLE_1) | instskip(SKIP_1) | instid1(SALU_CYCLE_1)
	s_cmp_lg_u32 s29, 0
	s_sub_co_ci_u32 s16, s16, 0
	s_cmp_ge_u32 s16, s9
	s_cselect_b32 s29, -1, 0
	s_cmp_ge_u32 s18, s8
	s_cselect_b32 s18, -1, 0
	s_cmp_eq_u32 s16, s9
	s_cselect_b32 s16, s18, s29
	s_delay_alu instid0(SALU_CYCLE_1) | instskip(SKIP_4) | instid1(SALU_CYCLE_1)
	s_cmp_lg_u32 s16, 0
	s_cselect_b32 s16, s34, s30
	s_cselect_b32 s18, s35, s31
	s_cmp_lg_u32 s12, 0
	s_sub_co_ci_u32 s12, s17, s19
	s_cmp_ge_u32 s12, s9
	s_cselect_b32 s17, -1, 0
	s_cmp_ge_u32 s11, s8
	s_cselect_b32 s8, -1, 0
	s_cmp_eq_u32 s12, s9
	s_cselect_b32 s8, s8, s17
	s_delay_alu instid0(SALU_CYCLE_1) | instskip(SKIP_3) | instid1(SALU_CYCLE_1)
	s_cmp_lg_u32 s8, 0
	s_cselect_b32 s9, s18, s27
	s_cselect_b32 s8, s16, s26
	s_xor_b64 s[2:3], s[14:15], s[2:3]
	s_xor_b64 s[8:9], s[8:9], s[2:3]
	s_delay_alu instid0(SALU_CYCLE_1)
	s_sub_nc_u64 s[26:27], s[8:9], s[2:3]
	s_cbranch_execnz .LBB5_9
.LBB5_8:
	v_cvt_f32_u32_e32 v1, s22
	s_sub_co_i32 s3, 0, s22
	s_mov_b32 s27, 0
	s_delay_alu instid0(VALU_DEP_1) | instskip(SKIP_1) | instid1(TRANS32_DEP_1)
	v_rcp_iflag_f32_e32 v1, v1
	v_nop
	v_mul_f32_e32 v1, 0x4f7ffffe, v1
	s_delay_alu instid0(VALU_DEP_1) | instskip(NEXT) | instid1(VALU_DEP_1)
	v_cvt_u32_f32_e32 v1, v1
	v_readfirstlane_b32 s2, v1
	s_mul_i32 s3, s3, s2
	s_delay_alu instid0(SALU_CYCLE_1) | instskip(NEXT) | instid1(SALU_CYCLE_1)
	s_mul_hi_u32 s3, s2, s3
	s_add_co_i32 s2, s2, s3
	s_delay_alu instid0(SALU_CYCLE_1) | instskip(NEXT) | instid1(SALU_CYCLE_1)
	s_mul_hi_u32 s2, s10, s2
	s_mul_i32 s3, s2, s22
	s_add_co_i32 s8, s2, 1
	s_sub_co_i32 s3, s10, s3
	s_delay_alu instid0(SALU_CYCLE_1)
	s_sub_co_i32 s9, s3, s22
	s_cmp_ge_u32 s3, s22
	s_cselect_b32 s2, s8, s2
	s_cselect_b32 s3, s9, s3
	s_add_co_i32 s8, s2, 1
	s_cmp_ge_u32 s3, s22
	s_cselect_b32 s26, s8, s2
.LBB5_9:
	s_wait_kmcnt 0x0
	v_cmp_lt_i64_e64 s2, s[22:23], 1
	s_and_b32 vcc_lo, exec_lo, s2
	s_cbranch_vccnz .LBB5_44
; %bb.10:
	s_clause 0x3
	s_load_b64 s[2:3], s[0:1], 0x4
	s_load_b32 s33, s[0:1], 0x58
	s_load_b128 s[16:19], s[0:1], 0x68
	s_load_b256 s[8:15], s[0:1], 0x38
	s_wait_xcnt 0x0
	s_bfe_u32 s0, ttmp6, 0x40010
	s_bfe_u32 s1, ttmp6, 0x40004
	s_add_co_i32 s0, s0, 1
	v_bfe_u32 v6, v0, 10, 10
	s_mul_i32 s0, ttmp7, s0
	v_and_b32_e32 v0, 0x3ff, v0
	s_add_co_i32 s1, s1, s0
	s_cmp_eq_u32 s28, 0
	v_mov_b32_e32 v7, 0
	s_cselect_b32 s0, ttmp7, s1
	s_mov_b32 s29, 0
	s_lshl_b32 s28, s0, 5
	s_delay_alu instid0(VALU_DEP_1)
	v_dual_mov_b32 v9, v7 :: v_dual_lshlrev_b32 v8, 3, v0
	v_dual_mov_b32 v13, v7 :: v_dual_lshlrev_b32 v12, 3, v6
	v_lshlrev_b32_e32 v40, 8, v6
	s_wait_kmcnt 0x0
	s_cmp_eq_u32 s2, 0x6f
	s_mul_u64 s[30:31], s[22:23], s[24:25]
	s_cselect_b32 s2, -1, 0
	s_cmp_lg_u32 s33, 1
	v_add_nc_u64_e32 v[10:11], s[28:29], v[6:7]
	s_cselect_b32 s37, -1, 0
	s_cmp_lg_u32 s3, 0
	v_or_b32_e32 v24, 0x2000, v8
	s_cselect_b32 s3, -1, 0
	s_cmp_lg_u32 s20, 1
	v_cmp_gt_i64_e64 s40, s[26:27], 0
	s_cselect_b32 s33, -1, 0
	s_lshl_b64 s[0:1], s[30:31], 3
	v_mul_u64_e32 v[18:19], s[14:15], v[10:11]
	v_add_nc_u64_e32 v[14:15], s[0:1], v[8:9]
	v_add_nc_u64_e32 v[16:17], s[0:1], v[12:13]
	v_cmp_neq_f64_e64 s0, 0, v[4:5]
	v_cmp_gt_i64_e64 s1, s[6:7], v[10:11]
	s_mul_u64 s[38:39], s[22:23], s[22:23]
	v_dual_mov_b32 v1, v7 :: v_dual_add_nc_u32 v41, v8, v40
	v_mad_nc_u64_u32 v[20:21], s22, v14, v[12:13]
	v_mad_nc_u64_u32 v[22:23], s22, v16, v[8:9]
	v_mul_u64_e32 v[12:13], s[18:19], v[10:11]
	v_add_nc_u32_e32 v42, v24, v40
	v_add_nc_u32_e32 v43, 0x1000, v8
	;; [unrolled: 1-line block ×3, first 2 shown]
	s_mul_u64 s[38:39], s[38:39], s[4:5]
	s_xor_b32 s2, s2, s37
	s_mov_b64 s[34:35], 0
	s_mov_b32 s28, s21
	s_and_b32 s41, s36, s1
	v_mad_u32 v14, s23, v14, v21
	v_mad_u32 v16, s23, v16, v23
	s_lshl_b64 s[6:7], s[22:23], 3
	s_lshl_b64 s[20:21], s[22:23], 8
	s_xor_b32 s42, s2, -1
	s_delay_alu instid0(VALU_DEP_2) | instskip(NEXT) | instid1(VALU_DEP_2)
	v_mad_u32 v21, s22, v15, v14
	v_mad_u32 v23, s22, v17, v16
	v_lshl_add_u64 v[16:17], v[18:19], 3, v[8:9]
	v_lshl_add_u64 v[14:15], v[10:11], 3, s[12:13]
	v_add_nc_u32_e32 v9, 0x800, v8
	s_delay_alu instid0(VALU_DEP_3)
	v_add_nc_u64_e32 v[16:17], s[12:13], v[16:17]
	s_lshl_b64 s[12:13], s[14:15], 3
	s_lshl_b64 s[14:15], s[14:15], 8
	v_add_nc_u64_e32 v[18:19], s[10:11], v[20:21]
	v_add_nc_u64_e32 v[20:21], s[10:11], v[22:23]
	s_lshl_b64 s[10:11], s[38:39], 3
	s_branch .LBB5_12
.LBB5_11:                               ;   in Loop: Header=BB5_12 Depth=1
	s_wait_xcnt 0x0
	s_or_b32 exec_lo, exec_lo, s2
	s_add_nc_u64 s[34:35], s[34:35], 32
	v_add_nc_u64_e32 v[18:19], s[20:21], v[18:19]
	v_cmp_lt_i64_e64 s2, s[34:35], s[22:23]
	v_add_nc_u64_e32 v[20:21], 0x100, v[20:21]
	s_and_b32 vcc_lo, exec_lo, s2
	s_cbranch_vccz .LBB5_44
.LBB5_12:                               ; =>This Loop Header: Depth=1
                                        ;     Child Loop BB5_15 Depth 2
                                        ;       Child Loop BB5_17 Depth 3
	v_add_nc_u64_e32 v[22:23], s[34:35], v[0:1]
	v_mov_b64_e32 v[24:25], 0
	s_and_not1_b32 vcc_lo, exec_lo, s40
	s_delay_alu instid0(VALU_DEP_2)
	v_cmp_gt_i64_e64 s2, s[22:23], v[22:23]
	s_cbranch_vccnz .LBB5_35
; %bb.13:                               ;   in Loop: Header=BB5_12 Depth=1
	v_mov_b64_e32 v[26:27], v[20:21]
	v_mov_b64_e32 v[28:29], v[18:19]
	s_mov_b64 s[36:37], 0
	s_branch .LBB5_15
.LBB5_14:                               ;   in Loop: Header=BB5_15 Depth=2
	v_add_nc_u64_e32 v[28:29], s[10:11], v[28:29]
	v_add_nc_u64_e32 v[26:27], s[10:11], v[26:27]
	s_add_nc_u64 s[36:37], s[36:37], 1
	s_delay_alu instid0(SALU_CYCLE_1)
	s_cmp_eq_u64 s[36:37], s[26:27]
	s_cbranch_scc1 .LBB5_35
.LBB5_15:                               ;   Parent Loop BB5_12 Depth=1
                                        ; =>  This Loop Header: Depth=2
                                        ;       Child Loop BB5_17 Depth 3
	s_mul_u64 s[38:39], s[36:37], s[4:5]
	s_delay_alu instid0(VALU_DEP_1) | instskip(SKIP_1) | instid1(SALU_CYCLE_1)
	v_mov_b64_e32 v[36:37], v[28:29]
	s_add_nc_u64 s[38:39], s[38:39], s[24:25]
	s_lshl_b64 s[38:39], s[38:39], 3
	s_delay_alu instid0(SALU_CYCLE_1) | instskip(SKIP_4) | instid1(SALU_CYCLE_1)
	s_add_nc_u64 s[38:39], s[8:9], s[38:39]
	s_load_b64 s[38:39], s[38:39], 0x0
	s_wait_kmcnt 0x0
	s_wait_xcnt 0x0
	s_sub_nc_u64 s[38:39], s[38:39], s[28:29]
	v_mad_nc_u64_u32 v[34:35], s38, s22, v[0:1]
	v_mad_nc_u64_u32 v[32:33], s6, s38, v[16:17]
	s_mul_i32 s43, s39, s22
	s_mul_i32 s44, s38, s23
	s_delay_alu instid0(VALU_DEP_2) | instskip(NEXT) | instid1(VALU_DEP_1)
	v_mad_nc_u64_u32 v[30:31], s12, v34, v[14:15]
	v_mad_u32 v31, s13, v34, v31
	s_delay_alu instid0(VALU_DEP_4)
	v_add3_u32 v34, s44, s43, v35
	s_mul_i32 s43, s7, s38
	s_mul_i32 s44, s6, s39
	s_delay_alu instid0(VALU_DEP_4) | instid1(SALU_CYCLE_1)
	v_add3_u32 v33, s44, s43, v33
	v_cmp_gt_i64_e64 s43, s[38:39], -1
	s_mov_b64 s[38:39], 0
	v_mad_u32 v31, s12, v34, v31
	v_mov_b64_e32 v[34:35], v[26:27]
	s_branch .LBB5_17
.LBB5_16:                               ;   in Loop: Header=BB5_17 Depth=3
	s_add_nc_u64 s[38:39], s[38:39], 32
	v_add_nc_u64_e32 v[32:33], 0x100, v[32:33]
	v_cmp_ge_i64_e64 s44, s[38:39], s[22:23]
	v_add_nc_u64_e32 v[36:37], 0x100, v[36:37]
	v_add_nc_u64_e32 v[30:31], s[14:15], v[30:31]
	;; [unrolled: 1-line block ×3, first 2 shown]
	s_barrier_signal -1
	s_barrier_wait -1
	s_and_b32 vcc_lo, exec_lo, s44
	s_cbranch_vccnz .LBB5_14
.LBB5_17:                               ;   Parent Loop BB5_12 Depth=1
                                        ;     Parent Loop BB5_15 Depth=2
                                        ; =>    This Inner Loop Header: Depth=3
	v_add_nc_u64_e32 v[38:39], s[38:39], v[0:1]
	s_mov_b32 s45, -1
	s_delay_alu instid0(VALU_DEP_1)
	v_cmp_gt_i64_e32 vcc_lo, s[22:23], v[38:39]
                                        ; implicit-def: $vgpr38_vgpr39
	s_and_b32 s44, s1, vcc_lo
	s_and_b32 vcc_lo, exec_lo, s42
	s_and_b32 s44, s44, s43
	s_cbranch_vccz .LBB5_21
; %bb.18:                               ;   in Loop: Header=BB5_17 Depth=3
	v_mov_b64_e32 v[38:39], 0
	s_and_saveexec_b32 s45, s44
	s_cbranch_execz .LBB5_20
; %bb.19:                               ;   in Loop: Header=BB5_17 Depth=3
	global_load_b64 v[38:39], v[30:31], off
.LBB5_20:                               ;   in Loop: Header=BB5_17 Depth=3
	s_wait_xcnt 0x0
	s_or_b32 exec_lo, exec_lo, s45
	s_mov_b32 s45, 0
.LBB5_21:                               ;   in Loop: Header=BB5_17 Depth=3
	s_delay_alu instid0(SALU_CYCLE_1)
	s_and_not1_b32 vcc_lo, exec_lo, s45
	s_cbranch_vccnz .LBB5_25
; %bb.22:                               ;   in Loop: Header=BB5_17 Depth=3
	s_wait_loadcnt 0x0
	v_mov_b64_e32 v[38:39], 0
	s_and_saveexec_b32 s45, s44
	s_cbranch_execz .LBB5_24
; %bb.23:                               ;   in Loop: Header=BB5_17 Depth=3
	global_load_b64 v[38:39], v[32:33], off
.LBB5_24:                               ;   in Loop: Header=BB5_17 Depth=3
	s_wait_xcnt 0x0
	s_or_b32 exec_lo, exec_lo, s45
.LBB5_25:                               ;   in Loop: Header=BB5_17 Depth=3
	v_add_nc_u64_e32 v[46:47], s[38:39], v[6:7]
	s_wait_loadcnt 0x0
	ds_store_b64 v42, v[38:39]
	v_cmp_gt_i64_e32 vcc_lo, s[22:23], v[46:47]
	s_and_b32 s44, s2, vcc_lo
	s_and_b32 vcc_lo, exec_lo, s3
	s_and_b32 s44, s44, s43
	s_cbranch_vccz .LBB5_29
; %bb.26:                               ;   in Loop: Header=BB5_17 Depth=3
	v_mov_b64_e32 v[38:39], 0
	s_and_saveexec_b32 s45, s44
	s_cbranch_execz .LBB5_28
; %bb.27:                               ;   in Loop: Header=BB5_17 Depth=3
	global_load_b64 v[38:39], v[34:35], off
.LBB5_28:                               ;   in Loop: Header=BB5_17 Depth=3
	s_wait_xcnt 0x0
	s_or_b32 exec_lo, exec_lo, s45
	s_cbranch_execz .LBB5_30
	s_branch .LBB5_33
.LBB5_29:                               ;   in Loop: Header=BB5_17 Depth=3
                                        ; implicit-def: $vgpr38_vgpr39
.LBB5_30:                               ;   in Loop: Header=BB5_17 Depth=3
	s_wait_loadcnt 0x0
	v_mov_b64_e32 v[38:39], 0
	s_and_saveexec_b32 s45, s44
	s_cbranch_execz .LBB5_32
; %bb.31:                               ;   in Loop: Header=BB5_17 Depth=3
	global_load_b64 v[38:39], v[36:37], off
.LBB5_32:                               ;   in Loop: Header=BB5_17 Depth=3
	s_wait_xcnt 0x0
	s_or_b32 exec_lo, exec_lo, s45
.LBB5_33:                               ;   in Loop: Header=BB5_17 Depth=3
	s_delay_alu instid0(SALU_CYCLE_1)
	s_and_not1_b32 vcc_lo, exec_lo, s43
	s_wait_loadcnt 0x0
	ds_store_b64 v41, v[38:39]
	s_wait_dscnt 0x0
	s_barrier_signal -1
	s_barrier_wait -1
	s_cbranch_vccnz .LBB5_16
; %bb.34:                               ;   in Loop: Header=BB5_17 Depth=3
	ds_load_2addr_b64 v[46:49], v8 offset1:32
	ds_load_b128 v[50:53], v40 offset:8192
	ds_load_b128 v[54:57], v40 offset:8208
	s_wait_dscnt 0x1
	v_fmac_f64_e32 v[24:25], v[46:47], v[50:51]
	s_delay_alu instid0(VALU_DEP_1) | instskip(SKIP_3) | instid1(VALU_DEP_1)
	v_fmac_f64_e32 v[24:25], v[48:49], v[52:53]
	ds_load_2addr_b64 v[46:49], v8 offset0:64 offset1:96
	s_wait_dscnt 0x0
	v_fmac_f64_e32 v[24:25], v[46:47], v[54:55]
	v_fmac_f64_e32 v[24:25], v[48:49], v[56:57]
	ds_load_2addr_b64 v[46:49], v8 offset0:128 offset1:160
	ds_load_b128 v[50:53], v40 offset:8224
	ds_load_b128 v[54:57], v40 offset:8240
	s_wait_dscnt 0x1
	v_fmac_f64_e32 v[24:25], v[46:47], v[50:51]
	s_delay_alu instid0(VALU_DEP_1) | instskip(SKIP_3) | instid1(VALU_DEP_1)
	v_fmac_f64_e32 v[24:25], v[48:49], v[52:53]
	ds_load_2addr_b64 v[46:49], v8 offset0:192 offset1:224
	s_wait_dscnt 0x0
	v_fmac_f64_e32 v[24:25], v[46:47], v[54:55]
	v_fmac_f64_e32 v[24:25], v[48:49], v[56:57]
	ds_load_2addr_b64 v[46:49], v9 offset1:32
	ds_load_b128 v[50:53], v40 offset:8256
	ds_load_b128 v[54:57], v40 offset:8272
	s_wait_dscnt 0x1
	v_fmac_f64_e32 v[24:25], v[46:47], v[50:51]
	s_delay_alu instid0(VALU_DEP_1) | instskip(SKIP_3) | instid1(VALU_DEP_1)
	v_fmac_f64_e32 v[24:25], v[48:49], v[52:53]
	ds_load_2addr_b64 v[46:49], v9 offset0:64 offset1:96
	s_wait_dscnt 0x0
	v_fmac_f64_e32 v[24:25], v[46:47], v[54:55]
	v_fmac_f64_e32 v[24:25], v[48:49], v[56:57]
	ds_load_2addr_b64 v[46:49], v9 offset0:128 offset1:160
	ds_load_b128 v[50:53], v40 offset:8288
	ds_load_b128 v[54:57], v40 offset:8304
	s_wait_dscnt 0x1
	v_fmac_f64_e32 v[24:25], v[46:47], v[50:51]
	s_delay_alu instid0(VALU_DEP_1) | instskip(SKIP_3) | instid1(VALU_DEP_1)
	v_fmac_f64_e32 v[24:25], v[48:49], v[52:53]
	ds_load_2addr_b64 v[46:49], v9 offset0:192 offset1:224
	s_wait_dscnt 0x0
	v_fmac_f64_e32 v[24:25], v[46:47], v[54:55]
	v_fmac_f64_e32 v[24:25], v[48:49], v[56:57]
	;; [unrolled: 22-line block ×4, first 2 shown]
	s_branch .LBB5_16
.LBB5_35:                               ;   in Loop: Header=BB5_12 Depth=1
	v_add_nc_u64_e32 v[28:29], s[30:31], v[22:23]
	s_and_b32 vcc_lo, exec_lo, s33
	s_mov_b32 s2, -1
                                        ; implicit-def: $vgpr26_vgpr27
	s_cbranch_vccnz .LBB5_38
; %bb.36:                               ;   in Loop: Header=BB5_12 Depth=1
	s_and_not1_b32 vcc_lo, exec_lo, s2
	s_cbranch_vccz .LBB5_39
.LBB5_37:                               ;   in Loop: Header=BB5_12 Depth=1
	v_cmp_gt_i64_e32 vcc_lo, s[22:23], v[22:23]
	s_and_b32 s36, s41, vcc_lo
	s_delay_alu instid0(SALU_CYCLE_1)
	s_and_saveexec_b32 s2, s36
	s_cbranch_execz .LBB5_11
	s_branch .LBB5_40
.LBB5_38:                               ;   in Loop: Header=BB5_12 Depth=1
	s_delay_alu instid0(VALU_DEP_1) | instskip(NEXT) | instid1(VALU_DEP_1)
	v_mad_nc_u64_u32 v[26:27], v28, s18, v[10:11]
	v_mad_u32 v27, v29, s18, v27
	s_delay_alu instid0(VALU_DEP_1)
	v_mad_u32 v27, v28, s19, v27
	s_cbranch_execnz .LBB5_37
.LBB5_39:                               ;   in Loop: Header=BB5_12 Depth=1
	s_delay_alu instid0(VALU_DEP_1) | instskip(SKIP_2) | instid1(SALU_CYCLE_1)
	v_add_nc_u64_e32 v[26:27], v[28:29], v[12:13]
	v_cmp_gt_i64_e32 vcc_lo, s[22:23], v[22:23]
	s_and_b32 s36, s41, vcc_lo
	s_and_saveexec_b32 s2, s36
	s_cbranch_execz .LBB5_11
.LBB5_40:                               ;   in Loop: Header=BB5_12 Depth=1
	v_mul_f64_e32 v[24:25], v[2:3], v[24:25]
	s_delay_alu instid0(VALU_DEP_3) | instskip(SKIP_1) | instid1(SALU_CYCLE_1)
	v_lshl_add_u64 v[22:23], v[26:27], 3, s[16:17]
	s_and_saveexec_b32 s36, s0
	s_xor_b32 s36, exec_lo, s36
	s_cbranch_execz .LBB5_42
; %bb.41:                               ;   in Loop: Header=BB5_12 Depth=1
	global_load_b64 v[26:27], v[22:23], off
	s_wait_loadcnt 0x0
	v_fmac_f64_e32 v[24:25], v[4:5], v[26:27]
	global_store_b64 v[22:23], v[24:25], off
                                        ; implicit-def: $vgpr22_vgpr23
                                        ; implicit-def: $vgpr24_vgpr25
.LBB5_42:                               ;   in Loop: Header=BB5_12 Depth=1
	s_wait_xcnt 0x0
	s_and_not1_saveexec_b32 s36, s36
	s_cbranch_execz .LBB5_11
; %bb.43:                               ;   in Loop: Header=BB5_12 Depth=1
	global_store_b64 v[22:23], v[24:25], off
	s_branch .LBB5_11
.LBB5_44:
	s_endpgm
.LBB5_45:
                                        ; implicit-def: $sgpr26_sgpr27
	s_branch .LBB5_8
	.section	.rodata,"a",@progbits
	.p2align	6, 0x0
	.amdhsa_kernel _ZN9rocsparseL30bellmm_general_blockdim_kernelILi32ELi32EdldddEEv20rocsparse_operation_S1_20rocsparse_direction_T2_S3_NS_24const_host_device_scalarIT1_EES3_S3_PKS3_PKT3_PKT4_l16rocsparse_order_S6_PT5_lSF_21rocsparse_index_base_b
		.amdhsa_group_segment_fixed_size 16384
		.amdhsa_private_segment_fixed_size 0
		.amdhsa_kernarg_size 132
		.amdhsa_user_sgpr_count 2
		.amdhsa_user_sgpr_dispatch_ptr 0
		.amdhsa_user_sgpr_queue_ptr 0
		.amdhsa_user_sgpr_kernarg_segment_ptr 1
		.amdhsa_user_sgpr_dispatch_id 0
		.amdhsa_user_sgpr_kernarg_preload_length 0
		.amdhsa_user_sgpr_kernarg_preload_offset 0
		.amdhsa_user_sgpr_private_segment_size 0
		.amdhsa_wavefront_size32 1
		.amdhsa_uses_dynamic_stack 0
		.amdhsa_enable_private_segment 0
		.amdhsa_system_sgpr_workgroup_id_x 1
		.amdhsa_system_sgpr_workgroup_id_y 1
		.amdhsa_system_sgpr_workgroup_id_z 0
		.amdhsa_system_sgpr_workgroup_info 0
		.amdhsa_system_vgpr_workitem_id 1
		.amdhsa_next_free_vgpr 58
		.amdhsa_next_free_sgpr 46
		.amdhsa_named_barrier_count 0
		.amdhsa_reserve_vcc 1
		.amdhsa_float_round_mode_32 0
		.amdhsa_float_round_mode_16_64 0
		.amdhsa_float_denorm_mode_32 3
		.amdhsa_float_denorm_mode_16_64 3
		.amdhsa_fp16_overflow 0
		.amdhsa_memory_ordered 1
		.amdhsa_forward_progress 1
		.amdhsa_inst_pref_size 21
		.amdhsa_round_robin_scheduling 0
		.amdhsa_exception_fp_ieee_invalid_op 0
		.amdhsa_exception_fp_denorm_src 0
		.amdhsa_exception_fp_ieee_div_zero 0
		.amdhsa_exception_fp_ieee_overflow 0
		.amdhsa_exception_fp_ieee_underflow 0
		.amdhsa_exception_fp_ieee_inexact 0
		.amdhsa_exception_int_div_zero 0
	.end_amdhsa_kernel
	.section	.text._ZN9rocsparseL30bellmm_general_blockdim_kernelILi32ELi32EdldddEEv20rocsparse_operation_S1_20rocsparse_direction_T2_S3_NS_24const_host_device_scalarIT1_EES3_S3_PKS3_PKT3_PKT4_l16rocsparse_order_S6_PT5_lSF_21rocsparse_index_base_b,"axG",@progbits,_ZN9rocsparseL30bellmm_general_blockdim_kernelILi32ELi32EdldddEEv20rocsparse_operation_S1_20rocsparse_direction_T2_S3_NS_24const_host_device_scalarIT1_EES3_S3_PKS3_PKT3_PKT4_l16rocsparse_order_S6_PT5_lSF_21rocsparse_index_base_b,comdat
.Lfunc_end5:
	.size	_ZN9rocsparseL30bellmm_general_blockdim_kernelILi32ELi32EdldddEEv20rocsparse_operation_S1_20rocsparse_direction_T2_S3_NS_24const_host_device_scalarIT1_EES3_S3_PKS3_PKT3_PKT4_l16rocsparse_order_S6_PT5_lSF_21rocsparse_index_base_b, .Lfunc_end5-_ZN9rocsparseL30bellmm_general_blockdim_kernelILi32ELi32EdldddEEv20rocsparse_operation_S1_20rocsparse_direction_T2_S3_NS_24const_host_device_scalarIT1_EES3_S3_PKS3_PKT3_PKT4_l16rocsparse_order_S6_PT5_lSF_21rocsparse_index_base_b
                                        ; -- End function
	.set _ZN9rocsparseL30bellmm_general_blockdim_kernelILi32ELi32EdldddEEv20rocsparse_operation_S1_20rocsparse_direction_T2_S3_NS_24const_host_device_scalarIT1_EES3_S3_PKS3_PKT3_PKT4_l16rocsparse_order_S6_PT5_lSF_21rocsparse_index_base_b.num_vgpr, 58
	.set _ZN9rocsparseL30bellmm_general_blockdim_kernelILi32ELi32EdldddEEv20rocsparse_operation_S1_20rocsparse_direction_T2_S3_NS_24const_host_device_scalarIT1_EES3_S3_PKS3_PKT3_PKT4_l16rocsparse_order_S6_PT5_lSF_21rocsparse_index_base_b.num_agpr, 0
	.set _ZN9rocsparseL30bellmm_general_blockdim_kernelILi32ELi32EdldddEEv20rocsparse_operation_S1_20rocsparse_direction_T2_S3_NS_24const_host_device_scalarIT1_EES3_S3_PKS3_PKT3_PKT4_l16rocsparse_order_S6_PT5_lSF_21rocsparse_index_base_b.numbered_sgpr, 46
	.set _ZN9rocsparseL30bellmm_general_blockdim_kernelILi32ELi32EdldddEEv20rocsparse_operation_S1_20rocsparse_direction_T2_S3_NS_24const_host_device_scalarIT1_EES3_S3_PKS3_PKT3_PKT4_l16rocsparse_order_S6_PT5_lSF_21rocsparse_index_base_b.num_named_barrier, 0
	.set _ZN9rocsparseL30bellmm_general_blockdim_kernelILi32ELi32EdldddEEv20rocsparse_operation_S1_20rocsparse_direction_T2_S3_NS_24const_host_device_scalarIT1_EES3_S3_PKS3_PKT3_PKT4_l16rocsparse_order_S6_PT5_lSF_21rocsparse_index_base_b.private_seg_size, 0
	.set _ZN9rocsparseL30bellmm_general_blockdim_kernelILi32ELi32EdldddEEv20rocsparse_operation_S1_20rocsparse_direction_T2_S3_NS_24const_host_device_scalarIT1_EES3_S3_PKS3_PKT3_PKT4_l16rocsparse_order_S6_PT5_lSF_21rocsparse_index_base_b.uses_vcc, 1
	.set _ZN9rocsparseL30bellmm_general_blockdim_kernelILi32ELi32EdldddEEv20rocsparse_operation_S1_20rocsparse_direction_T2_S3_NS_24const_host_device_scalarIT1_EES3_S3_PKS3_PKT3_PKT4_l16rocsparse_order_S6_PT5_lSF_21rocsparse_index_base_b.uses_flat_scratch, 0
	.set _ZN9rocsparseL30bellmm_general_blockdim_kernelILi32ELi32EdldddEEv20rocsparse_operation_S1_20rocsparse_direction_T2_S3_NS_24const_host_device_scalarIT1_EES3_S3_PKS3_PKT3_PKT4_l16rocsparse_order_S6_PT5_lSF_21rocsparse_index_base_b.has_dyn_sized_stack, 0
	.set _ZN9rocsparseL30bellmm_general_blockdim_kernelILi32ELi32EdldddEEv20rocsparse_operation_S1_20rocsparse_direction_T2_S3_NS_24const_host_device_scalarIT1_EES3_S3_PKS3_PKT3_PKT4_l16rocsparse_order_S6_PT5_lSF_21rocsparse_index_base_b.has_recursion, 0
	.set _ZN9rocsparseL30bellmm_general_blockdim_kernelILi32ELi32EdldddEEv20rocsparse_operation_S1_20rocsparse_direction_T2_S3_NS_24const_host_device_scalarIT1_EES3_S3_PKS3_PKT3_PKT4_l16rocsparse_order_S6_PT5_lSF_21rocsparse_index_base_b.has_indirect_call, 0
	.section	.AMDGPU.csdata,"",@progbits
; Kernel info:
; codeLenInByte = 2576
; TotalNumSgprs: 48
; NumVgprs: 58
; ScratchSize: 0
; MemoryBound: 0
; FloatMode: 240
; IeeeMode: 1
; LDSByteSize: 16384 bytes/workgroup (compile time only)
; SGPRBlocks: 0
; VGPRBlocks: 3
; NumSGPRsForWavesPerEU: 48
; NumVGPRsForWavesPerEU: 58
; NamedBarCnt: 0
; Occupancy: 16
; WaveLimiterHint : 1
; COMPUTE_PGM_RSRC2:SCRATCH_EN: 0
; COMPUTE_PGM_RSRC2:USER_SGPR: 2
; COMPUTE_PGM_RSRC2:TRAP_HANDLER: 0
; COMPUTE_PGM_RSRC2:TGID_X_EN: 1
; COMPUTE_PGM_RSRC2:TGID_Y_EN: 1
; COMPUTE_PGM_RSRC2:TGID_Z_EN: 0
; COMPUTE_PGM_RSRC2:TIDIG_COMP_CNT: 1
	.section	.text._ZN9rocsparseL30bellmm_general_blockdim_kernelILi32ELi32E21rocsparse_complex_numIfEiS2_S2_S2_EEv20rocsparse_operation_S3_20rocsparse_direction_T2_S5_NS_24const_host_device_scalarIT1_EES5_S5_PKS5_PKT3_PKT4_l16rocsparse_order_S8_PT5_lSH_21rocsparse_index_base_b,"axG",@progbits,_ZN9rocsparseL30bellmm_general_blockdim_kernelILi32ELi32E21rocsparse_complex_numIfEiS2_S2_S2_EEv20rocsparse_operation_S3_20rocsparse_direction_T2_S5_NS_24const_host_device_scalarIT1_EES5_S5_PKS5_PKT3_PKT4_l16rocsparse_order_S8_PT5_lSH_21rocsparse_index_base_b,comdat
	.globl	_ZN9rocsparseL30bellmm_general_blockdim_kernelILi32ELi32E21rocsparse_complex_numIfEiS2_S2_S2_EEv20rocsparse_operation_S3_20rocsparse_direction_T2_S5_NS_24const_host_device_scalarIT1_EES5_S5_PKS5_PKT3_PKT4_l16rocsparse_order_S8_PT5_lSH_21rocsparse_index_base_b ; -- Begin function _ZN9rocsparseL30bellmm_general_blockdim_kernelILi32ELi32E21rocsparse_complex_numIfEiS2_S2_S2_EEv20rocsparse_operation_S3_20rocsparse_direction_T2_S5_NS_24const_host_device_scalarIT1_EES5_S5_PKS5_PKT3_PKT4_l16rocsparse_order_S8_PT5_lSH_21rocsparse_index_base_b
	.p2align	8
	.type	_ZN9rocsparseL30bellmm_general_blockdim_kernelILi32ELi32E21rocsparse_complex_numIfEiS2_S2_S2_EEv20rocsparse_operation_S3_20rocsparse_direction_T2_S5_NS_24const_host_device_scalarIT1_EES5_S5_PKS5_PKT3_PKT4_l16rocsparse_order_S8_PT5_lSH_21rocsparse_index_base_b,@function
_ZN9rocsparseL30bellmm_general_blockdim_kernelILi32ELi32E21rocsparse_complex_numIfEiS2_S2_S2_EEv20rocsparse_operation_S3_20rocsparse_direction_T2_S5_NS_24const_host_device_scalarIT1_EES5_S5_PKS5_PKT3_PKT4_l16rocsparse_order_S8_PT5_lSH_21rocsparse_index_base_b: ; @_ZN9rocsparseL30bellmm_general_blockdim_kernelILi32ELi32E21rocsparse_complex_numIfEiS2_S2_S2_EEv20rocsparse_operation_S3_20rocsparse_direction_T2_S5_NS_24const_host_device_scalarIT1_EES5_S5_PKS5_PKT3_PKT4_l16rocsparse_order_S8_PT5_lSH_21rocsparse_index_base_b
; %bb.0:
	s_clause 0x2
	s_load_b96 s[20:22], s[0:1], 0x68
	s_load_b64 s[2:3], s[0:1], 0x18
	s_load_b64 s[4:5], s[0:1], 0x50
	v_mov_b32_e32 v1, 0
	s_add_nc_u64 s[6:7], s[0:1], 24
	s_add_nc_u64 s[8:9], s[0:1], 0x50
	s_mov_b32 s23, 0
	s_wait_kmcnt 0x0
	s_bitcmp1_b32 s22, 0
	s_cselect_b32 s3, s7, s3
	s_cselect_b32 s2, s6, s2
	;; [unrolled: 1-line block ×4, first 2 shown]
	s_clause 0x1
	flat_load_b64 v[12:13], v1, s[2:3]
	flat_load_b64 v[14:15], v1, s[4:5]
	s_wait_loadcnt_dscnt 0x101
	s_wait_xcnt 0x1
	v_cmp_eq_f32_e64 s2, 0, v12
	v_cmp_eq_f32_e64 s3, 0, v13
	s_wait_loadcnt_dscnt 0x0
	v_cmp_eq_f32_e64 s4, 1.0, v14
	v_cmp_eq_f32_e32 vcc_lo, 0, v15
	s_and_b32 s2, s2, s3
	s_and_b32 s3, s4, vcc_lo
	s_delay_alu instid0(SALU_CYCLE_1) | instskip(NEXT) | instid1(SALU_CYCLE_1)
	s_and_b32 s2, s2, s3
	s_xor_b32 s2, s2, -1
	s_delay_alu instid0(SALU_CYCLE_1)
	s_and_saveexec_b32 s3, s2
	s_cbranch_execz .LBB6_54
; %bb.1:
	s_clause 0x1
	s_load_b128 s[12:15], s[0:1], 0x0
	s_load_b64 s[2:3], s[0:1], 0x20
	s_bfe_u32 s4, ttmp6, 0x4000c
	s_and_b32 s5, ttmp6, 15
	s_add_co_i32 s4, s4, 1
	s_getreg_b32 s16, hwreg(HW_REG_IB_STS2, 6, 4)
	s_mul_i32 s4, ttmp9, s4
	s_delay_alu instid0(SALU_CYCLE_1)
	s_add_co_i32 s5, s5, s4
	s_cmp_eq_u32 s16, 0
	s_cselect_b32 s22, ttmp9, s5
	s_wait_kmcnt 0x0
	s_cmp_lt_i32 s22, s15
	s_cselect_b32 s27, -1, 0
	s_cmp_ge_i32 s22, s15
	s_cbranch_scc1 .LBB6_3
; %bb.2:
	s_abs_i32 s4, s3
	s_abs_i32 s7, s2
	s_cvt_f32_u32 s5, s4
	s_sub_co_i32 s6, 0, s4
	s_xor_b32 s2, s2, s3
	s_delay_alu instid0(SALU_CYCLE_1) | instskip(SKIP_2) | instid1(TRANS32_DEP_1)
	s_ashr_i32 s2, s2, 31
	v_rcp_iflag_f32_e32 v1, s5
	v_nop
	v_readfirstlane_b32 s5, v1
	s_mul_f32 s5, s5, 0x4f7ffffe
	s_delay_alu instid0(SALU_CYCLE_3) | instskip(NEXT) | instid1(SALU_CYCLE_3)
	s_cvt_u32_f32 s5, s5
	s_mul_i32 s6, s6, s5
	s_delay_alu instid0(SALU_CYCLE_1) | instskip(NEXT) | instid1(SALU_CYCLE_1)
	s_mul_hi_u32 s6, s5, s6
	s_add_co_i32 s5, s5, s6
	s_delay_alu instid0(SALU_CYCLE_1) | instskip(NEXT) | instid1(SALU_CYCLE_1)
	s_mul_hi_u32 s5, s7, s5
	s_mul_i32 s6, s5, s4
	s_delay_alu instid0(SALU_CYCLE_1)
	s_sub_co_i32 s6, s7, s6
	s_add_co_i32 s7, s5, 1
	s_sub_co_i32 s8, s6, s4
	s_cmp_ge_u32 s6, s4
	s_cselect_b32 s5, s7, s5
	s_cselect_b32 s6, s8, s6
	s_add_co_i32 s7, s5, 1
	s_cmp_ge_u32 s6, s4
	s_cselect_b32 s4, s7, s5
	s_delay_alu instid0(SALU_CYCLE_1) | instskip(NEXT) | instid1(SALU_CYCLE_1)
	s_xor_b32 s4, s4, s2
	s_sub_co_i32 s23, s4, s2
.LBB6_3:
	s_cmp_lt_i32 s3, 1
	s_cbranch_scc1 .LBB6_54
; %bb.4:
	s_bfe_u32 s2, ttmp6, 0x40010
	s_load_b256 s[4:11], s[0:1], 0x28
	s_add_co_i32 s2, s2, 1
	s_bfe_u32 s17, ttmp6, 0x40004
	s_mul_i32 s2, ttmp7, s2
	v_bfe_u32 v34, v0, 10, 10
	s_add_co_i32 s17, s17, s2
	s_cmp_eq_u32 s16, 0
	s_load_b32 s26, s[0:1], 0x48
	s_cselect_b32 s2, ttmp7, s17
	v_and_b32_e32 v35, 0x3ff, v0
	v_lshl_add_u32 v16, s2, 5, v34
	s_load_b128 s[16:19], s[0:1], 0x58
	s_cmp_gt_i32 s23, 0
	s_wait_xcnt 0x0
	s_load_b32 s0, s[0:1], 0x10
	s_cselect_b32 s25, -1, 0
	v_dual_ashrrev_i32 v17, 31, v16 :: v_dual_mov_b32 v19, v12
	s_cmp_eq_u32 s13, 0x6f
	s_mul_i32 s24, s3, s22
	s_cselect_b32 s28, -1, 0
	s_wait_kmcnt 0x0
	v_mul_u64_e32 v[0:1], s[10:11], v[16:17]
	v_dual_add_nc_u32 v3, s24, v34 :: v_dual_mov_b32 v21, v14
	v_dual_lshlrev_b32 v36, 3, v35 :: v_dual_lshlrev_b32 v2, 8, v34
	v_cmp_neq_f32_e64 s1, 0, v14
	s_delay_alu instid0(VALU_DEP_3)
	v_mul_lo_u32 v38, s3, v3
	s_cmp_lg_u32 s26, 1
	v_or_b32_e32 v4, 0x2000, v36
	s_cselect_b32 s29, -1, 0
	s_cmp_lg_u32 s14, 0
	v_xor_b32_e32 v18, 0x80000000, v13
	s_cselect_b32 s14, -1, 0
	s_cmp_eq_u32 s13, 0x71
	v_cmp_gt_i32_e64 s0, s0, v16
	s_cselect_b32 s26, -1, 0
	s_cmp_lg_u32 s13, 0x71
	v_xor_b32_e32 v20, 0x80000000, v15
	s_cselect_b32 s13, -1, 0
	s_cmp_lg_u32 s12, 0x71
	v_add_nc_u32_e32 v37, 0x2000, v2
	s_cselect_b32 s30, -1, 0
	v_lshl_add_u64 v[22:23], v[16:17], 3, s[8:9]
	s_and_b32 s31, s30, s26
	s_or_b32 s12, s30, s13
	s_or_b32 s13, s30, s26
	s_xor_b32 s26, s31, -1
	s_cmp_lg_u32 s20, 1
	v_dual_mov_b32 v27, 0 :: v_dual_add_nc_u32 v39, v4, v2
	v_add_nc_u32_e32 v40, v36, v2
	v_add_nc_u32_e32 v41, 0x400, v36
	v_lshl_add_u64 v[24:25], v[0:1], 3, s[8:9]
	v_add_nc_u32_e32 v42, 0x800, v36
	v_add_nc_u32_e32 v43, 0xc00, v36
	;; [unrolled: 1-line block ×5, first 2 shown]
	s_cselect_b32 s20, -1, 0
	s_xor_b32 s30, vcc_lo, -1
	s_xor_b32 s29, s28, s29
	s_mul_i32 s9, s3, s3
	s_mov_b32 s2, 0
	s_and_b32 s27, s27, s0
	s_or_b32 s28, s1, s30
	s_xor_b32 s8, s29, -1
	s_mul_i32 s9, s9, s15
	s_lshl_b32 s29, s3, 5
	s_branch .LBB6_6
.LBB6_5:                                ;   in Loop: Header=BB6_6 Depth=1
	s_wait_xcnt 0x0
	s_or_b32 exec_lo, exec_lo, s1
	v_add_nc_u32_e32 v38, 32, v38
	s_add_co_i32 s2, s2, 32
	s_delay_alu instid0(SALU_CYCLE_1)
	s_cmp_lt_i32 s2, s3
	s_cbranch_scc0 .LBB6_54
.LBB6_6:                                ; =>This Loop Header: Depth=1
                                        ;     Child Loop BB6_9 Depth 2
                                        ;       Child Loop BB6_12 Depth 3
	v_add_nc_u32_e32 v47, s2, v35
	v_mov_b64_e32 v[28:29], 0
	s_and_not1_b32 vcc_lo, exec_lo, s25
	s_delay_alu instid0(VALU_DEP_2)
	v_cmp_gt_i32_e64 s1, s3, v47
	s_cbranch_vccnz .LBB6_45
; %bb.7:                                ;   in Loop: Header=BB6_6 Depth=1
	v_mov_b32_e32 v48, v38
	s_mov_b32 s30, 0
	s_branch .LBB6_9
.LBB6_8:                                ;   in Loop: Header=BB6_9 Depth=2
	v_add_nc_u32_e32 v48, s9, v48
	s_add_co_i32 s30, s30, 1
	s_delay_alu instid0(SALU_CYCLE_1)
	s_cmp_eq_u32 s30, s23
	s_cbranch_scc1 .LBB6_45
.LBB6_9:                                ;   Parent Loop BB6_6 Depth=1
                                        ; =>  This Loop Header: Depth=2
                                        ;       Child Loop BB6_12 Depth 3
	s_mul_i32 s31, s30, s15
	s_mov_b32 s33, 0
	s_add_co_i32 s34, s31, s22
	s_delay_alu instid0(SALU_CYCLE_1)
	s_ashr_i32 s35, s34, 31
	v_mad_u32 v0, s34, s3, v47
	s_lshl_b64 s[36:37], s[34:35], 2
	s_mov_b32 s34, 0
	s_add_nc_u64 s[36:37], s[4:5], s[36:37]
	s_load_b32 s31, s[36:37], 0x0
	s_delay_alu instid0(VALU_DEP_1) | instskip(SKIP_2) | instid1(SALU_CYCLE_1)
	v_mul_lo_u32 v49, v0, s3
	s_wait_kmcnt 0x0
	s_sub_co_i32 s31, s31, s21
	v_mad_u32 v50, s31, s3, v35
	s_cmp_gt_i32 s31, -1
	s_cselect_b32 s31, -1, 0
	s_branch .LBB6_12
.LBB6_10:                               ;   in Loop: Header=BB6_12 Depth=3
	s_delay_alu instid0(VALU_DEP_1)
	v_mov_b64_e32 v[28:29], v[4:5]
.LBB6_11:                               ;   in Loop: Header=BB6_12 Depth=3
	s_add_co_i32 s34, s34, 32
	s_add_co_i32 s33, s33, s29
	s_cmp_ge_i32 s34, s3
	s_wait_dscnt 0x0
	s_barrier_signal -1
	s_barrier_wait -1
	s_cbranch_scc1 .LBB6_8
.LBB6_12:                               ;   Parent Loop BB6_6 Depth=1
                                        ;     Parent Loop BB6_9 Depth=2
                                        ; =>    This Inner Loop Header: Depth=3
	v_add_nc_u32_e32 v0, s34, v35
	s_delay_alu instid0(VALU_DEP_1)
	v_cmp_gt_i32_e32 vcc_lo, s3, v0
	s_and_b32 s35, s0, vcc_lo
	s_and_b32 vcc_lo, exec_lo, s8
	s_wait_xcnt 0x0
	s_and_b32 s36, s35, s31
	s_cbranch_vccz .LBB6_16
; %bb.13:                               ;   in Loop: Header=BB6_12 Depth=3
	s_mov_b32 s37, 0
	s_mov_b32 s35, 0
                                        ; implicit-def: $vgpr0_vgpr1
	s_and_saveexec_b32 s38, s36
	s_delay_alu instid0(SALU_CYCLE_1)
	s_xor_b32 s38, exec_lo, s38
	s_cbranch_execz .LBB6_15
; %bb.14:                               ;   in Loop: Header=BB6_12 Depth=3
	v_add_nc_u32_e32 v26, s34, v50
	s_mov_b32 s35, exec_lo
	s_delay_alu instid0(VALU_DEP_1) | instskip(NEXT) | instid1(VALU_DEP_1)
	v_mul_u64_e32 v[0:1], s[10:11], v[26:27]
	v_lshl_add_u64 v[0:1], v[0:1], 3, v[22:23]
.LBB6_15:                               ;   in Loop: Header=BB6_12 Depth=3
	s_or_b32 exec_lo, exec_lo, s38
	s_delay_alu instid0(SALU_CYCLE_1)
	s_and_b32 vcc_lo, exec_lo, s37
	s_cbranch_vccnz .LBB6_17
	s_branch .LBB6_20
.LBB6_16:                               ;   in Loop: Header=BB6_12 Depth=3
	s_mov_b32 s35, 0
                                        ; implicit-def: $vgpr0_vgpr1
	s_cbranch_execz .LBB6_20
.LBB6_17:                               ;   in Loop: Header=BB6_12 Depth=3
                                        ; implicit-def: $vgpr0_vgpr1
	s_and_saveexec_b32 s37, s36
; %bb.18:                               ;   in Loop: Header=BB6_12 Depth=3
	v_add_nc_u32_e32 v26, s34, v50
	s_or_b32 s35, s35, exec_lo
	s_delay_alu instid0(VALU_DEP_1)
	v_lshl_add_u64 v[0:1], v[26:27], 3, v[24:25]
; %bb.19:                               ;   in Loop: Header=BB6_12 Depth=3
	s_or_b32 exec_lo, exec_lo, s37
.LBB6_20:                               ;   in Loop: Header=BB6_12 Depth=3
	v_dual_mov_b32 v2, 0 :: v_dual_mov_b32 v3, 0
	s_and_saveexec_b32 s36, s35
	s_cbranch_execz .LBB6_22
; %bb.21:                               ;   in Loop: Header=BB6_12 Depth=3
	global_load_b64 v[2:3], v[0:1], off
.LBB6_22:                               ;   in Loop: Header=BB6_12 Depth=3
	s_wait_xcnt 0x0
	s_or_b32 exec_lo, exec_lo, s36
	v_add_nc_u32_e32 v0, s34, v34
	s_wait_loadcnt 0x0
	ds_store_b64 v39, v[2:3]
	v_cmp_gt_i32_e32 vcc_lo, s3, v0
	s_and_b32 s35, s1, vcc_lo
	s_and_b32 vcc_lo, exec_lo, s14
	s_and_b32 s36, s35, s31
	s_cbranch_vccz .LBB6_41
; %bb.23:                               ;   in Loop: Header=BB6_12 Depth=3
	s_mov_b32 s37, 0
	s_mov_b32 s35, 0
                                        ; implicit-def: $vgpr2
	s_and_saveexec_b32 s38, s36
	s_delay_alu instid0(SALU_CYCLE_1)
	s_xor_b32 s38, exec_lo, s38
; %bb.24:                               ;   in Loop: Header=BB6_12 Depth=3
	v_add_nc_u32_e32 v1, v35, v48
	s_mov_b32 s35, exec_lo
	s_delay_alu instid0(VALU_DEP_1)
	v_add_nc_u32_e32 v2, s33, v1
; %bb.25:                               ;   in Loop: Header=BB6_12 Depth=3
	s_or_b32 exec_lo, exec_lo, s38
	s_delay_alu instid0(SALU_CYCLE_1)
	s_and_b32 vcc_lo, exec_lo, s37
	s_cbranch_vccnz .LBB6_42
.LBB6_26:                               ;   in Loop: Header=BB6_12 Depth=3
	v_dual_mov_b32 v0, 0 :: v_dual_mov_b32 v1, 0
	s_and_saveexec_b32 s36, s35
	s_cbranch_execz .LBB6_28
.LBB6_27:                               ;   in Loop: Header=BB6_12 Depth=3
	global_load_b64 v[0:1], v2, s[6:7] scale_offset
.LBB6_28:                               ;   in Loop: Header=BB6_12 Depth=3
	s_wait_xcnt 0x0
	s_or_b32 exec_lo, exec_lo, s36
	s_delay_alu instid0(SALU_CYCLE_1)
	s_and_not1_b32 vcc_lo, exec_lo, s31
	s_wait_loadcnt 0x0
	ds_store_b64 v40, v[0:1]
	s_wait_dscnt 0x0
	s_barrier_signal -1
	s_barrier_wait -1
	s_cbranch_vccnz .LBB6_11
; %bb.29:                               ;   in Loop: Header=BB6_12 Depth=3
	s_and_b32 vcc_lo, exec_lo, s12
	s_mov_b32 s35, -1
                                        ; implicit-def: $vgpr4_vgpr5
	s_cbranch_vccz .LBB6_39
; %bb.30:                               ;   in Loop: Header=BB6_12 Depth=3
	s_and_b32 vcc_lo, exec_lo, s26
                                        ; implicit-def: $vgpr4_vgpr5
	s_cbranch_vccz .LBB6_36
; %bb.31:                               ;   in Loop: Header=BB6_12 Depth=3
	ds_load_2addr_b64 v[0:3], v36 offset1:32
	ds_load_b64 v[30:31], v36 offset:512
	s_and_not1_b32 vcc_lo, exec_lo, s13
                                        ; implicit-def: $vgpr4_vgpr5
	s_cbranch_vccnz .LBB6_33
; %bb.32:                               ;   in Loop: Header=BB6_12 Depth=3
	ds_load_b128 v[8:11], v37
	ds_load_b128 v[4:7], v37 offset:16
	ds_load_b64 v[32:33], v36 offset:7936
	s_mov_b32 s35, 0
	s_wait_dscnt 0x2
	v_pk_fma_f32 v[52:53], v[0:1], v[8:9], v[28:29] op_sel_hi:[1,0,1]
	v_mov_b32_e32 v26, v11
	s_delay_alu instid0(VALU_DEP_2) | instskip(SKIP_2) | instid1(VALU_DEP_1)
	v_pk_fma_f32 v[8:9], v[0:1], v[8:9], v[52:53] op_sel:[1,1,0] op_sel_hi:[0,1,1] neg_lo:[1,0,0]
	ds_load_2addr_b64 v[52:55], v36 offset0:96 offset1:128
	v_pk_fma_f32 v[8:9], v[2:3], v[10:11], v[8:9] op_sel_hi:[1,0,1]
	v_pk_fma_f32 v[56:57], v[2:3], v[26:27], v[8:9] op_sel:[1,0,0] op_sel_hi:[0,0,1] neg_lo:[1,0,0]
	ds_load_b128 v[8:11], v37 offset:32
	s_wait_dscnt 0x3
	v_mov_b32_e32 v26, v7
	v_pk_fma_f32 v[56:57], v[30:31], v[4:5], v[56:57] op_sel_hi:[1,0,1]
	s_delay_alu instid0(VALU_DEP_1) | instskip(SKIP_3) | instid1(VALU_DEP_1)
	v_pk_fma_f32 v[4:5], v[30:31], v[4:5], v[56:57] op_sel:[1,1,0] op_sel_hi:[0,1,1] neg_lo:[1,0,0]
	ds_load_2addr_b64 v[56:59], v36 offset0:160 offset1:192
	s_wait_dscnt 0x2
	v_pk_fma_f32 v[4:5], v[52:53], v[6:7], v[4:5] op_sel_hi:[1,0,1]
	v_pk_fma_f32 v[52:53], v[52:53], v[26:27], v[4:5] op_sel:[1,0,0] op_sel_hi:[0,0,1] neg_lo:[1,0,0]
	ds_load_b128 v[4:7], v37 offset:48
	s_wait_dscnt 0x2
	v_mov_b32_e32 v26, v11
	v_pk_fma_f32 v[52:53], v[54:55], v[8:9], v[52:53] op_sel_hi:[1,0,1]
	s_delay_alu instid0(VALU_DEP_1) | instskip(SKIP_3) | instid1(VALU_DEP_1)
	v_pk_fma_f32 v[8:9], v[54:55], v[8:9], v[52:53] op_sel:[1,1,0] op_sel_hi:[0,1,1] neg_lo:[1,0,0]
	ds_load_2addr_b64 v[52:55], v41 offset0:96 offset1:128
	s_wait_dscnt 0x2
	;; [unrolled: 10-line block ×13, first 2 shown]
	v_pk_fma_f32 v[4:5], v[52:53], v[6:7], v[4:5] op_sel_hi:[1,0,1]
	v_pk_fma_f32 v[52:53], v[52:53], v[26:27], v[4:5] op_sel:[1,0,0] op_sel_hi:[0,0,1] neg_lo:[1,0,0]
	ds_load_b128 v[4:7], v37 offset:240
	s_wait_dscnt 0x2
	v_mov_b32_e32 v26, v11
	v_pk_fma_f32 v[52:53], v[54:55], v[8:9], v[52:53] op_sel_hi:[1,0,1]
	s_delay_alu instid0(VALU_DEP_1) | instskip(SKIP_1) | instid1(VALU_DEP_1)
	v_pk_fma_f32 v[8:9], v[54:55], v[8:9], v[52:53] op_sel:[1,1,0] op_sel_hi:[0,1,1] neg_lo:[1,0,0]
	s_wait_dscnt 0x1
	v_pk_fma_f32 v[8:9], v[56:57], v[10:11], v[8:9] op_sel_hi:[1,0,1]
	s_delay_alu instid0(VALU_DEP_1) | instskip(SKIP_1) | instid1(VALU_DEP_1)
	v_pk_fma_f32 v[8:9], v[56:57], v[26:27], v[8:9] op_sel:[1,0,0] op_sel_hi:[0,0,1] neg_lo:[1,0,0]
	s_wait_dscnt 0x0
	v_pk_fma_f32 v[8:9], v[58:59], v[4:5], v[8:9] op_sel_hi:[1,0,1]
	s_delay_alu instid0(VALU_DEP_1) | instskip(NEXT) | instid1(VALU_DEP_1)
	v_pk_fma_f32 v[4:5], v[58:59], v[4:5], v[8:9] op_sel:[1,1,0] op_sel_hi:[0,1,1] neg_lo:[1,0,0]
	v_pk_fma_f32 v[4:5], v[32:33], v[6:7], v[4:5] op_sel_hi:[1,0,1]
	v_mov_b32_e32 v6, v7
	s_delay_alu instid0(VALU_DEP_1)
	v_pk_fma_f32 v[4:5], v[32:33], v[6:7], v[4:5] op_sel:[1,0,0] op_sel_hi:[0,0,1] neg_lo:[1,0,0]
.LBB6_33:                               ;   in Loop: Header=BB6_12 Depth=3
	s_and_not1_b32 vcc_lo, exec_lo, s35
	s_cbranch_vccnz .LBB6_35
; %bb.34:                               ;   in Loop: Header=BB6_12 Depth=3
	ds_load_b128 v[8:11], v37
	ds_load_b128 v[4:7], v37 offset:16
	ds_load_b64 v[32:33], v36 offset:7936
	ds_load_2addr_b64 v[56:59], v45 offset0:96 offset1:128
	s_wait_dscnt 0x3
	v_pk_fma_f32 v[52:53], v[0:1], v[8:9], v[28:29] op_sel_hi:[1,0,1] neg_hi:[1,0,0]
	s_wait_dscnt 0x2
	v_mov_b32_e32 v26, v7
	s_delay_alu instid0(VALU_DEP_2) | instskip(SKIP_3) | instid1(VALU_DEP_1)
	v_pk_fma_f32 v[0:1], v[0:1], v[8:9], v[52:53] op_sel:[0,1,1] op_sel_hi:[1,1,0]
	ds_load_2addr_b64 v[52:55], v36 offset0:96 offset1:128
	v_mov_b32_e32 v8, v11
	v_pk_fma_f32 v[0:1], v[2:3], v[10:11], v[0:1] op_sel:[1,0,0] op_sel_hi:[0,0,1] neg_lo:[1,0,0]
	v_pk_fma_f32 v[8:9], v[2:3], v[8:9], v[0:1] op_sel_hi:[1,0,1]
	ds_load_b128 v[0:3], v37 offset:32
	v_pk_fma_f32 v[8:9], v[30:31], v[4:5], v[8:9] op_sel:[1,0,0] op_sel_hi:[0,0,1] neg_lo:[1,0,0]
	s_delay_alu instid0(VALU_DEP_1) | instskip(SKIP_3) | instid1(VALU_DEP_1)
	v_pk_fma_f32 v[4:5], v[30:31], v[4:5], v[8:9] op_sel:[0,1,0]
	ds_load_2addr_b64 v[8:11], v36 offset0:160 offset1:192
	s_wait_dscnt 0x2
	v_pk_fma_f32 v[4:5], v[52:53], v[6:7], v[4:5] op_sel:[1,0,0] op_sel_hi:[0,0,1] neg_lo:[1,0,0]
	v_pk_fma_f32 v[30:31], v[52:53], v[26:27], v[4:5] op_sel_hi:[1,0,1]
	ds_load_b128 v[4:7], v37 offset:48
	s_wait_dscnt 0x2
	v_mov_b32_e32 v26, v3
	v_pk_fma_f32 v[30:31], v[54:55], v[0:1], v[30:31] op_sel:[1,0,0] op_sel_hi:[0,0,1] neg_lo:[1,0,0]
	s_delay_alu instid0(VALU_DEP_1) | instskip(SKIP_3) | instid1(VALU_DEP_1)
	v_pk_fma_f32 v[0:1], v[54:55], v[0:1], v[30:31] op_sel:[0,1,0]
	ds_load_2addr_b64 v[52:55], v41 offset0:96 offset1:128
	s_wait_dscnt 0x2
	v_pk_fma_f32 v[0:1], v[8:9], v[2:3], v[0:1] op_sel:[1,0,0] op_sel_hi:[0,0,1] neg_lo:[1,0,0]
	v_pk_fma_f32 v[8:9], v[8:9], v[26:27], v[0:1] op_sel_hi:[1,0,1]
	ds_load_b128 v[0:3], v37 offset:64
	s_wait_dscnt 0x2
	v_mov_b32_e32 v26, v7
	;; [unrolled: 10-line block ×9, first 2 shown]
	v_pk_fma_f32 v[30:31], v[54:55], v[0:1], v[30:31] op_sel:[1,0,0] op_sel_hi:[0,0,1] neg_lo:[1,0,0]
	s_delay_alu instid0(VALU_DEP_1)
	v_pk_fma_f32 v[0:1], v[54:55], v[0:1], v[30:31] op_sel:[0,1,0]
	s_wait_dscnt 0x1
	v_xor_b32_e32 v31, 0x80000000, v11
	v_mov_b32_e32 v30, v10
	ds_load_2addr_b64 v[52:55], v46 offset0:32 offset1:64
	v_pk_fma_f32 v[0:1], v[8:9], v[2:3], v[0:1] op_sel:[1,0,0] op_sel_hi:[0,0,1] neg_lo:[1,0,0]
	s_delay_alu instid0(VALU_DEP_1)
	v_pk_fma_f32 v[8:9], v[8:9], v[26:27], v[0:1] op_sel_hi:[1,0,1]
	ds_load_b128 v[0:3], v37 offset:192
	s_wait_dscnt 0x2
	v_pk_fma_f32 v[8:9], v[30:31], v[4:5], v[8:9] op_sel:[0,0,1] op_sel_hi:[1,0,0]
	v_xor_b32_e32 v31, 0x80000000, v57
	v_mov_b32_e32 v30, v56
	s_delay_alu instid0(VALU_DEP_3) | instskip(SKIP_3) | instid1(VALU_DEP_4)
	v_pk_fma_f32 v[4:5], v[10:11], v[4:5], v[8:9] op_sel:[1,1,0] op_sel_hi:[0,1,1]
	v_mov_b32_e32 v8, v7
	v_xor_b32_e32 v11, 0x80000000, v59
	v_mov_b32_e32 v10, v58
	v_pk_fma_f32 v[4:5], v[30:31], v[6:7], v[4:5] op_sel_hi:[1,0,1]
	s_delay_alu instid0(VALU_DEP_1)
	v_pk_fma_f32 v[8:9], v[56:57], v[8:9], v[4:5] op_sel:[1,0,0] op_sel_hi:[0,0,1]
	ds_load_b128 v[4:7], v37 offset:208
	s_wait_dscnt 0x2
	v_xor_b32_e32 v57, 0x80000000, v53
	s_wait_dscnt 0x1
	v_dual_mov_b32 v56, v52 :: v_dual_mov_b32 v26, v3
	v_pk_fma_f32 v[30:31], v[10:11], v[0:1], v[8:9] op_sel_hi:[1,0,1]
	ds_load_2addr_b64 v[8:11], v46 offset0:96 offset1:128
	v_pk_fma_f32 v[0:1], v[58:59], v[0:1], v[30:31] op_sel:[1,1,0] op_sel_hi:[0,1,1]
	v_xor_b32_e32 v31, 0x80000000, v55
	v_mov_b32_e32 v30, v54
	s_delay_alu instid0(VALU_DEP_3)
	v_pk_fma_f32 v[0:1], v[56:57], v[2:3], v[0:1] op_sel_hi:[1,0,1]
	ds_load_2addr_b64 v[56:59], v46 offset0:160 offset1:192
	v_pk_fma_f32 v[52:53], v[52:53], v[26:27], v[0:1] op_sel:[1,0,0] op_sel_hi:[0,0,1]
	ds_load_b128 v[0:3], v37 offset:224
	s_wait_dscnt 0x3
	v_mov_b32_e32 v26, v7
	v_pk_fma_f32 v[30:31], v[30:31], v[4:5], v[52:53] op_sel_hi:[1,0,1]
	s_wait_dscnt 0x2
	v_xor_b32_e32 v53, 0x80000000, v9
	v_mov_b32_e32 v52, v8
	s_delay_alu instid0(VALU_DEP_3) | instskip(SKIP_2) | instid1(VALU_DEP_3)
	v_pk_fma_f32 v[4:5], v[54:55], v[4:5], v[30:31] op_sel:[1,1,0] op_sel_hi:[0,1,1]
	v_xor_b32_e32 v31, 0x80000000, v11
	v_mov_b32_e32 v30, v10
	v_pk_fma_f32 v[4:5], v[52:53], v[6:7], v[4:5] op_sel_hi:[1,0,1]
	s_delay_alu instid0(VALU_DEP_1)
	v_pk_fma_f32 v[8:9], v[8:9], v[26:27], v[4:5] op_sel:[1,0,0] op_sel_hi:[0,0,1]
	ds_load_b128 v[4:7], v37 offset:240
	s_wait_dscnt 0x1
	v_pk_fma_f32 v[8:9], v[30:31], v[0:1], v[8:9] op_sel_hi:[1,0,1]
	v_xor_b32_e32 v31, 0x80000000, v57
	v_mov_b32_e32 v30, v56
	s_delay_alu instid0(VALU_DEP_3) | instskip(SKIP_1) | instid1(VALU_DEP_2)
	v_pk_fma_f32 v[0:1], v[10:11], v[0:1], v[8:9] op_sel:[1,1,0] op_sel_hi:[0,1,1]
	v_mov_b32_e32 v8, v3
	v_pk_fma_f32 v[0:1], v[30:31], v[2:3], v[0:1] op_sel_hi:[1,0,1]
	v_xor_b32_e32 v3, 0x80000000, v59
	v_mov_b32_e32 v2, v58
	s_delay_alu instid0(VALU_DEP_3) | instskip(SKIP_1) | instid1(VALU_DEP_1)
	v_pk_fma_f32 v[0:1], v[56:57], v[8:9], v[0:1] op_sel:[1,0,0] op_sel_hi:[0,0,1]
	s_wait_dscnt 0x0
	v_pk_fma_f32 v[0:1], v[2:3], v[4:5], v[0:1] op_sel_hi:[1,0,1]
	v_xor_b32_e32 v3, 0x80000000, v33
	v_mov_b32_e32 v2, v32
	s_delay_alu instid0(VALU_DEP_3) | instskip(NEXT) | instid1(VALU_DEP_1)
	v_pk_fma_f32 v[0:1], v[58:59], v[4:5], v[0:1] op_sel:[1,1,0] op_sel_hi:[0,1,1]
	v_pk_fma_f32 v[0:1], v[2:3], v[6:7], v[0:1] op_sel_hi:[1,0,1]
	v_mov_b32_e32 v2, v7
	s_delay_alu instid0(VALU_DEP_1)
	v_pk_fma_f32 v[4:5], v[32:33], v[2:3], v[0:1] op_sel:[1,0,0] op_sel_hi:[0,0,1]
.LBB6_35:                               ;   in Loop: Header=BB6_12 Depth=3
	s_mov_b32 s35, 0
.LBB6_36:                               ;   in Loop: Header=BB6_12 Depth=3
	s_delay_alu instid0(SALU_CYCLE_1)
	s_and_not1_b32 vcc_lo, exec_lo, s35
	s_cbranch_vccnz .LBB6_38
; %bb.37:                               ;   in Loop: Header=BB6_12 Depth=3
	s_wait_dscnt 0x1
	ds_load_2addr_b64 v[0:3], v36 offset1:32
	ds_load_b128 v[4:7], v37
	ds_load_b128 v[8:11], v37 offset:16
	s_wait_dscnt 0x3
	ds_load_2addr_b64 v[30:33], v36 offset0:64 offset1:96
	s_wait_dscnt 0x2
	v_pk_fma_f32 v[52:53], v[0:1], v[4:5], v[28:29] op_sel_hi:[1,0,1]
	s_wait_dscnt 0x1
	v_mov_b32_e32 v26, v11
	s_delay_alu instid0(VALU_DEP_2) | instskip(SKIP_1) | instid1(VALU_DEP_2)
	v_pk_fma_f32 v[0:1], v[0:1], v[4:5], v[52:53] op_sel:[1,1,0] op_sel_hi:[0,1,1] neg_hi:[0,1,0]
	v_mov_b32_e32 v4, v7
	v_pk_fma_f32 v[0:1], v[2:3], v[6:7], v[0:1] op_sel_hi:[1,0,1]
	s_delay_alu instid0(VALU_DEP_1) | instskip(SKIP_4) | instid1(VALU_DEP_1)
	v_pk_fma_f32 v[52:53], v[2:3], v[4:5], v[0:1] op_sel:[1,0,0] op_sel_hi:[0,0,1] neg_hi:[0,1,0]
	ds_load_b128 v[0:3], v37 offset:32
	ds_load_2addr_b64 v[4:7], v36 offset0:128 offset1:160
	s_wait_dscnt 0x2
	v_pk_fma_f32 v[52:53], v[30:31], v[8:9], v[52:53] op_sel_hi:[1,0,1]
	v_pk_fma_f32 v[8:9], v[30:31], v[8:9], v[52:53] op_sel:[1,1,0] op_sel_hi:[0,1,1] neg_hi:[0,1,0]
	s_delay_alu instid0(VALU_DEP_1) | instskip(NEXT) | instid1(VALU_DEP_1)
	v_pk_fma_f32 v[8:9], v[32:33], v[10:11], v[8:9] op_sel_hi:[1,0,1]
	v_pk_fma_f32 v[52:53], v[32:33], v[26:27], v[8:9] op_sel:[1,0,0] op_sel_hi:[0,0,1] neg_hi:[0,1,0]
	ds_load_b128 v[8:11], v37 offset:48
	ds_load_2addr_b64 v[30:33], v36 offset0:192 offset1:224
	s_wait_dscnt 0x2
	v_pk_fma_f32 v[52:53], v[4:5], v[0:1], v[52:53] op_sel_hi:[1,0,1]
	s_delay_alu instid0(VALU_DEP_1) | instskip(SKIP_1) | instid1(VALU_DEP_2)
	v_pk_fma_f32 v[0:1], v[4:5], v[0:1], v[52:53] op_sel:[1,1,0] op_sel_hi:[0,1,1] neg_hi:[0,1,0]
	v_mov_b32_e32 v4, v3
	v_pk_fma_f32 v[0:1], v[6:7], v[2:3], v[0:1] op_sel_hi:[1,0,1]
	s_wait_dscnt 0x1
	v_mov_b32_e32 v26, v11
	s_delay_alu instid0(VALU_DEP_2) | instskip(SKIP_4) | instid1(VALU_DEP_1)
	v_pk_fma_f32 v[52:53], v[6:7], v[4:5], v[0:1] op_sel:[0,0,1] op_sel_hi:[1,0,0] neg_lo:[0,1,0]
	ds_load_b128 v[0:3], v37 offset:64
	ds_load_2addr_b64 v[4:7], v42 offset1:32
	s_wait_dscnt 0x2
	v_pk_fma_f32 v[52:53], v[30:31], v[8:9], v[52:53] op_sel:[1,0,0] op_sel_hi:[0,0,1]
	v_pk_fma_f32 v[8:9], v[30:31], v[8:9], v[52:53] op_sel:[0,1,0] neg_lo:[0,1,0]
	s_delay_alu instid0(VALU_DEP_1) | instskip(NEXT) | instid1(VALU_DEP_1)
	v_pk_fma_f32 v[8:9], v[32:33], v[10:11], v[8:9] op_sel:[1,0,0] op_sel_hi:[0,0,1]
	v_pk_fma_f32 v[52:53], v[32:33], v[26:27], v[8:9] op_sel_hi:[1,0,1] neg_lo:[0,1,0]
	ds_load_b128 v[8:11], v37 offset:80
	ds_load_2addr_b64 v[30:33], v42 offset0:64 offset1:96
	s_wait_dscnt 0x2
	v_pk_fma_f32 v[52:53], v[4:5], v[0:1], v[52:53] op_sel:[1,0,0] op_sel_hi:[0,0,1]
	s_delay_alu instid0(VALU_DEP_1) | instskip(SKIP_1) | instid1(VALU_DEP_2)
	v_pk_fma_f32 v[0:1], v[4:5], v[0:1], v[52:53] op_sel:[0,1,0] neg_lo:[0,1,0]
	v_mov_b32_e32 v4, v3
	v_pk_fma_f32 v[0:1], v[6:7], v[2:3], v[0:1] op_sel:[1,0,0] op_sel_hi:[0,0,1]
	s_wait_dscnt 0x1
	v_mov_b32_e32 v26, v11
	s_delay_alu instid0(VALU_DEP_2) | instskip(SKIP_4) | instid1(VALU_DEP_1)
	v_pk_fma_f32 v[52:53], v[6:7], v[4:5], v[0:1] op_sel_hi:[1,0,1] neg_lo:[0,1,0]
	ds_load_b128 v[0:3], v37 offset:96
	ds_load_2addr_b64 v[4:7], v42 offset0:128 offset1:160
	s_wait_dscnt 0x2
	v_pk_fma_f32 v[52:53], v[30:31], v[8:9], v[52:53] op_sel:[1,0,0] op_sel_hi:[0,0,1]
	v_pk_fma_f32 v[8:9], v[30:31], v[8:9], v[52:53] op_sel:[0,1,0] neg_lo:[0,1,0]
	s_delay_alu instid0(VALU_DEP_1) | instskip(NEXT) | instid1(VALU_DEP_1)
	v_pk_fma_f32 v[8:9], v[32:33], v[10:11], v[8:9] op_sel:[0,0,1] op_sel_hi:[1,0,0]
	v_pk_fma_f32 v[52:53], v[32:33], v[26:27], v[8:9] op_sel:[1,0,0] op_sel_hi:[0,0,1] neg_hi:[0,1,0]
	ds_load_b128 v[8:11], v37 offset:112
	ds_load_2addr_b64 v[30:33], v42 offset0:192 offset1:224
	s_wait_dscnt 0x2
	v_pk_fma_f32 v[52:53], v[4:5], v[0:1], v[52:53] op_sel_hi:[1,0,1]
	s_delay_alu instid0(VALU_DEP_1) | instskip(SKIP_1) | instid1(VALU_DEP_2)
	v_pk_fma_f32 v[0:1], v[4:5], v[0:1], v[52:53] op_sel:[1,1,0] op_sel_hi:[0,1,1] neg_hi:[0,1,0]
	v_mov_b32_e32 v4, v3
	v_pk_fma_f32 v[0:1], v[6:7], v[2:3], v[0:1] op_sel_hi:[1,0,1]
	s_wait_dscnt 0x1
	v_mov_b32_e32 v26, v11
	s_delay_alu instid0(VALU_DEP_2) | instskip(SKIP_4) | instid1(VALU_DEP_1)
	v_pk_fma_f32 v[52:53], v[6:7], v[4:5], v[0:1] op_sel:[1,0,0] op_sel_hi:[0,0,1] neg_hi:[0,1,0]
	ds_load_b128 v[0:3], v37 offset:128
	ds_load_2addr_b64 v[4:7], v44 offset1:32
	s_wait_dscnt 0x2
	v_pk_fma_f32 v[52:53], v[30:31], v[8:9], v[52:53] op_sel_hi:[1,0,1]
	v_pk_fma_f32 v[8:9], v[30:31], v[8:9], v[52:53] op_sel:[1,1,0] op_sel_hi:[0,1,1] neg_hi:[0,1,0]
	s_delay_alu instid0(VALU_DEP_1) | instskip(NEXT) | instid1(VALU_DEP_1)
	v_pk_fma_f32 v[8:9], v[32:33], v[10:11], v[8:9] op_sel_hi:[1,0,1]
	v_pk_fma_f32 v[52:53], v[32:33], v[26:27], v[8:9] op_sel:[1,0,0] op_sel_hi:[0,0,1] neg_hi:[0,1,0]
	ds_load_b128 v[8:11], v37 offset:144
	ds_load_2addr_b64 v[30:33], v44 offset0:64 offset1:96
	s_wait_dscnt 0x2
	v_pk_fma_f32 v[52:53], v[4:5], v[0:1], v[52:53] op_sel_hi:[1,0,1]
	s_delay_alu instid0(VALU_DEP_1) | instskip(SKIP_1) | instid1(VALU_DEP_2)
	v_pk_fma_f32 v[0:1], v[4:5], v[0:1], v[52:53] op_sel:[0,1,1] op_sel_hi:[1,1,0] neg_lo:[0,1,0]
	v_mov_b32_e32 v4, v3
	v_pk_fma_f32 v[0:1], v[6:7], v[2:3], v[0:1] op_sel:[1,0,0] op_sel_hi:[0,0,1]
	s_wait_dscnt 0x1
	v_mov_b32_e32 v26, v11
	s_delay_alu instid0(VALU_DEP_2) | instskip(SKIP_4) | instid1(VALU_DEP_1)
	v_pk_fma_f32 v[52:53], v[6:7], v[4:5], v[0:1] op_sel_hi:[1,0,1] neg_lo:[0,1,0]
	ds_load_b128 v[0:3], v37 offset:160
	ds_load_2addr_b64 v[4:7], v44 offset0:128 offset1:160
	s_wait_dscnt 0x2
	v_pk_fma_f32 v[52:53], v[30:31], v[8:9], v[52:53] op_sel:[1,0,0] op_sel_hi:[0,0,1]
	v_pk_fma_f32 v[8:9], v[30:31], v[8:9], v[52:53] op_sel:[0,1,0] neg_lo:[0,1,0]
	s_delay_alu instid0(VALU_DEP_1) | instskip(NEXT) | instid1(VALU_DEP_1)
	v_pk_fma_f32 v[8:9], v[32:33], v[10:11], v[8:9] op_sel:[1,0,0] op_sel_hi:[0,0,1]
	v_pk_fma_f32 v[52:53], v[32:33], v[26:27], v[8:9] op_sel_hi:[1,0,1] neg_lo:[0,1,0]
	ds_load_b128 v[8:11], v37 offset:176
	ds_load_2addr_b64 v[30:33], v44 offset0:192 offset1:224
	s_wait_dscnt 0x2
	v_pk_fma_f32 v[52:53], v[4:5], v[0:1], v[52:53] op_sel:[1,0,0] op_sel_hi:[0,0,1]
	s_delay_alu instid0(VALU_DEP_1) | instskip(SKIP_1) | instid1(VALU_DEP_2)
	v_pk_fma_f32 v[0:1], v[4:5], v[0:1], v[52:53] op_sel:[0,1,0] neg_lo:[0,1,0]
	v_mov_b32_e32 v4, v3
	v_pk_fma_f32 v[0:1], v[6:7], v[2:3], v[0:1] op_sel:[1,0,0] op_sel_hi:[0,0,1]
	s_wait_dscnt 0x1
	v_mov_b32_e32 v26, v11
	s_delay_alu instid0(VALU_DEP_2) | instskip(SKIP_4) | instid1(VALU_DEP_1)
	v_pk_fma_f32 v[52:53], v[6:7], v[4:5], v[0:1] op_sel_hi:[1,0,1] neg_lo:[0,1,0]
	ds_load_b128 v[0:3], v37 offset:192
	ds_load_2addr_b64 v[4:7], v46 offset1:32
	s_wait_dscnt 0x2
	v_pk_fma_f32 v[52:53], v[30:31], v[8:9], v[52:53] op_sel:[0,0,1] op_sel_hi:[1,0,0]
	v_pk_fma_f32 v[8:9], v[30:31], v[8:9], v[52:53] op_sel:[1,1,0] op_sel_hi:[0,1,1] neg_hi:[0,1,0]
	s_delay_alu instid0(VALU_DEP_1) | instskip(NEXT) | instid1(VALU_DEP_1)
	v_pk_fma_f32 v[8:9], v[32:33], v[10:11], v[8:9] op_sel_hi:[1,0,1]
	v_pk_fma_f32 v[52:53], v[32:33], v[26:27], v[8:9] op_sel:[1,0,0] op_sel_hi:[0,0,1] neg_hi:[0,1,0]
	ds_load_b128 v[8:11], v37 offset:208
	ds_load_2addr_b64 v[30:33], v46 offset0:64 offset1:96
	s_wait_dscnt 0x2
	v_pk_fma_f32 v[52:53], v[4:5], v[0:1], v[52:53] op_sel_hi:[1,0,1]
	s_delay_alu instid0(VALU_DEP_1) | instskip(SKIP_1) | instid1(VALU_DEP_2)
	v_pk_fma_f32 v[0:1], v[4:5], v[0:1], v[52:53] op_sel:[1,1,0] op_sel_hi:[0,1,1] neg_hi:[0,1,0]
	v_mov_b32_e32 v4, v3
	v_pk_fma_f32 v[0:1], v[6:7], v[2:3], v[0:1] op_sel_hi:[1,0,1]
	s_wait_dscnt 0x1
	v_mov_b32_e32 v26, v11
	s_delay_alu instid0(VALU_DEP_2) | instskip(SKIP_4) | instid1(VALU_DEP_1)
	v_pk_fma_f32 v[52:53], v[6:7], v[4:5], v[0:1] op_sel:[1,0,0] op_sel_hi:[0,0,1] neg_hi:[0,1,0]
	ds_load_b128 v[0:3], v37 offset:224
	ds_load_2addr_b64 v[4:7], v46 offset0:128 offset1:160
	s_wait_dscnt 0x2
	v_pk_fma_f32 v[52:53], v[30:31], v[8:9], v[52:53] op_sel_hi:[1,0,1]
	v_pk_fma_f32 v[8:9], v[30:31], v[8:9], v[52:53] op_sel:[1,1,0] op_sel_hi:[0,1,1] neg_hi:[0,1,0]
	s_delay_alu instid0(VALU_DEP_1) | instskip(NEXT) | instid1(VALU_DEP_1)
	v_pk_fma_f32 v[8:9], v[32:33], v[10:11], v[8:9] op_sel_hi:[1,0,1]
	v_pk_fma_f32 v[52:53], v[32:33], v[26:27], v[8:9] op_sel:[1,0,0] op_sel_hi:[0,0,1] neg_hi:[0,1,0]
	ds_load_b128 v[8:11], v37 offset:240
	ds_load_2addr_b64 v[30:33], v46 offset0:192 offset1:224
	s_wait_dscnt 0x2
	v_pk_fma_f32 v[52:53], v[4:5], v[0:1], v[52:53] op_sel_hi:[1,0,1]
	s_delay_alu instid0(VALU_DEP_1) | instskip(SKIP_1) | instid1(VALU_DEP_2)
	v_pk_fma_f32 v[0:1], v[4:5], v[0:1], v[52:53] op_sel:[1,1,0] op_sel_hi:[0,1,1] neg_hi:[0,1,0]
	v_mov_b32_e32 v4, v3
	v_pk_fma_f32 v[0:1], v[6:7], v[2:3], v[0:1] op_sel_hi:[1,0,1]
	s_wait_dscnt 0x1
	v_mov_b32_e32 v2, v11
	s_delay_alu instid0(VALU_DEP_2) | instskip(SKIP_1) | instid1(VALU_DEP_1)
	v_pk_fma_f32 v[0:1], v[6:7], v[4:5], v[0:1] op_sel:[1,0,0] op_sel_hi:[0,0,1] neg_hi:[0,1,0]
	s_wait_dscnt 0x0
	v_pk_fma_f32 v[0:1], v[30:31], v[8:9], v[0:1] op_sel_hi:[1,0,1]
	s_delay_alu instid0(VALU_DEP_1) | instskip(NEXT) | instid1(VALU_DEP_1)
	v_pk_fma_f32 v[0:1], v[30:31], v[8:9], v[0:1] op_sel:[1,1,0] op_sel_hi:[0,1,1] neg_hi:[0,1,0]
	v_pk_fma_f32 v[0:1], v[32:33], v[10:11], v[0:1] op_sel_hi:[1,0,1]
	s_delay_alu instid0(VALU_DEP_1)
	v_pk_fma_f32 v[4:5], v[32:33], v[2:3], v[0:1] op_sel:[1,0,0] op_sel_hi:[0,0,1] neg_hi:[0,1,0]
.LBB6_38:                               ;   in Loop: Header=BB6_12 Depth=3
	s_mov_b32 s35, 0
.LBB6_39:                               ;   in Loop: Header=BB6_12 Depth=3
	s_delay_alu instid0(SALU_CYCLE_1)
	s_and_not1_b32 vcc_lo, exec_lo, s35
	s_cbranch_vccnz .LBB6_10
; %bb.40:                               ;   in Loop: Header=BB6_12 Depth=3
	s_wait_dscnt 0x1
	ds_load_2addr_b64 v[0:3], v36 offset1:32
	ds_load_b128 v[4:7], v37
	ds_load_b128 v[8:11], v37 offset:16
	s_wait_dscnt 0x3
	ds_load_2addr_b64 v[30:33], v36 offset0:64 offset1:96
	s_wait_dscnt 0x2
	v_pk_fma_f32 v[28:29], v[0:1], v[4:5], v[28:29] op_sel_hi:[1,0,1] neg_hi:[1,0,0]
	s_wait_dscnt 0x1
	v_mov_b32_e32 v26, v11
	s_delay_alu instid0(VALU_DEP_2) | instskip(SKIP_1) | instid1(VALU_DEP_2)
	v_pk_fma_f32 v[0:1], v[0:1], v[4:5], v[28:29] op_sel:[0,1,1] op_sel_hi:[1,1,0] neg_lo:[0,1,0] neg_hi:[0,1,0]
	v_mov_b32_e32 v4, v7
	v_pk_fma_f32 v[0:1], v[2:3], v[6:7], v[0:1] op_sel:[1,0,0] op_sel_hi:[0,0,1] neg_lo:[1,0,0]
	s_delay_alu instid0(VALU_DEP_1) | instskip(SKIP_4) | instid1(VALU_DEP_1)
	v_pk_fma_f32 v[28:29], v[2:3], v[4:5], v[0:1] op_sel_hi:[1,0,1] neg_lo:[0,1,0] neg_hi:[0,1,0]
	ds_load_b128 v[0:3], v37 offset:32
	ds_load_2addr_b64 v[4:7], v36 offset0:128 offset1:160
	s_wait_dscnt 0x2
	v_pk_fma_f32 v[28:29], v[30:31], v[8:9], v[28:29] op_sel:[1,0,0] op_sel_hi:[0,0,1] neg_lo:[1,0,0]
	v_pk_fma_f32 v[8:9], v[30:31], v[8:9], v[28:29] op_sel:[0,1,0] neg_lo:[0,1,0] neg_hi:[0,1,0]
	s_delay_alu instid0(VALU_DEP_1) | instskip(NEXT) | instid1(VALU_DEP_1)
	v_pk_fma_f32 v[8:9], v[32:33], v[10:11], v[8:9] op_sel:[1,0,0] op_sel_hi:[0,0,1] neg_lo:[1,0,0]
	v_pk_fma_f32 v[32:33], v[32:33], v[26:27], v[8:9] op_sel_hi:[1,0,1] neg_lo:[0,1,0] neg_hi:[0,1,0]
	ds_load_b128 v[8:11], v37 offset:48
	ds_load_2addr_b64 v[28:31], v36 offset0:192 offset1:224
	s_wait_dscnt 0x2
	v_pk_fma_f32 v[32:33], v[4:5], v[0:1], v[32:33] op_sel:[1,0,0] op_sel_hi:[0,0,1] neg_lo:[1,0,0]
	s_delay_alu instid0(VALU_DEP_1) | instskip(SKIP_1) | instid1(VALU_DEP_2)
	v_pk_fma_f32 v[0:1], v[4:5], v[0:1], v[32:33] op_sel:[0,1,0] neg_lo:[0,1,0] neg_hi:[0,1,0]
	v_mov_b32_e32 v4, v3
	v_pk_fma_f32 v[0:1], v[6:7], v[2:3], v[0:1] op_sel:[1,0,0] op_sel_hi:[0,0,1] neg_lo:[1,0,0]
	s_wait_dscnt 0x1
	v_mov_b32_e32 v26, v11
	s_delay_alu instid0(VALU_DEP_2) | instskip(SKIP_4) | instid1(VALU_DEP_1)
	v_pk_fma_f32 v[32:33], v[6:7], v[4:5], v[0:1] op_sel_hi:[1,0,1] neg_lo:[0,1,0] neg_hi:[0,1,0]
	ds_load_b128 v[0:3], v37 offset:64
	ds_load_2addr_b64 v[4:7], v42 offset1:32
	s_wait_dscnt 0x2
	v_pk_fma_f32 v[32:33], v[28:29], v[8:9], v[32:33] op_sel:[1,0,0] op_sel_hi:[0,0,1] neg_lo:[1,0,0]
	v_pk_fma_f32 v[8:9], v[28:29], v[8:9], v[32:33] op_sel:[0,1,0] neg_lo:[0,1,0] neg_hi:[0,1,0]
	s_delay_alu instid0(VALU_DEP_1) | instskip(NEXT) | instid1(VALU_DEP_1)
	v_pk_fma_f32 v[8:9], v[30:31], v[10:11], v[8:9] op_sel:[1,0,0] op_sel_hi:[0,0,1] neg_lo:[1,0,0]
	v_pk_fma_f32 v[32:33], v[30:31], v[26:27], v[8:9] op_sel_hi:[1,0,1] neg_lo:[0,1,0] neg_hi:[0,1,0]
	ds_load_b128 v[8:11], v37 offset:80
	ds_load_2addr_b64 v[28:31], v42 offset0:64 offset1:96
	s_wait_dscnt 0x2
	v_pk_fma_f32 v[32:33], v[4:5], v[0:1], v[32:33] op_sel:[1,0,0] op_sel_hi:[0,0,1] neg_lo:[1,0,0]
	s_delay_alu instid0(VALU_DEP_1) | instskip(SKIP_1) | instid1(VALU_DEP_2)
	v_pk_fma_f32 v[0:1], v[4:5], v[0:1], v[32:33] op_sel:[0,1,0] neg_lo:[0,1,0] neg_hi:[0,1,0]
	v_mov_b32_e32 v4, v3
	v_pk_fma_f32 v[0:1], v[6:7], v[2:3], v[0:1] op_sel:[1,0,0] op_sel_hi:[0,0,1] neg_lo:[1,0,0]
	s_wait_dscnt 0x1
	v_mov_b32_e32 v26, v11
	s_delay_alu instid0(VALU_DEP_2) | instskip(SKIP_4) | instid1(VALU_DEP_1)
	v_pk_fma_f32 v[32:33], v[6:7], v[4:5], v[0:1] op_sel_hi:[1,0,1] neg_lo:[0,1,0] neg_hi:[0,1,0]
	ds_load_b128 v[0:3], v37 offset:96
	ds_load_2addr_b64 v[4:7], v42 offset0:128 offset1:160
	s_wait_dscnt 0x2
	v_pk_fma_f32 v[32:33], v[28:29], v[8:9], v[32:33] op_sel:[1,0,0] op_sel_hi:[0,0,1] neg_lo:[1,0,0]
	v_pk_fma_f32 v[8:9], v[28:29], v[8:9], v[32:33] op_sel:[0,1,0] neg_lo:[0,1,0] neg_hi:[0,1,0]
	s_delay_alu instid0(VALU_DEP_1) | instskip(NEXT) | instid1(VALU_DEP_1)
	v_pk_fma_f32 v[8:9], v[30:31], v[10:11], v[8:9] op_sel:[1,0,0] op_sel_hi:[0,0,1] neg_lo:[1,0,0]
	v_pk_fma_f32 v[32:33], v[30:31], v[26:27], v[8:9] op_sel_hi:[1,0,1] neg_lo:[0,1,0] neg_hi:[0,1,0]
	ds_load_b128 v[8:11], v37 offset:112
	ds_load_2addr_b64 v[28:31], v42 offset0:192 offset1:224
	s_wait_dscnt 0x2
	v_pk_fma_f32 v[32:33], v[4:5], v[0:1], v[32:33] op_sel:[1,0,0] op_sel_hi:[0,0,1] neg_lo:[1,0,0]
	s_delay_alu instid0(VALU_DEP_1) | instskip(SKIP_1) | instid1(VALU_DEP_2)
	v_pk_fma_f32 v[0:1], v[4:5], v[0:1], v[32:33] op_sel:[0,1,0] neg_lo:[0,1,0] neg_hi:[0,1,0]
	v_mov_b32_e32 v4, v3
	v_pk_fma_f32 v[0:1], v[6:7], v[2:3], v[0:1] op_sel:[1,0,0] op_sel_hi:[0,0,1] neg_lo:[1,0,0]
	s_wait_dscnt 0x1
	v_mov_b32_e32 v26, v11
	s_delay_alu instid0(VALU_DEP_2) | instskip(SKIP_4) | instid1(VALU_DEP_1)
	v_pk_fma_f32 v[32:33], v[6:7], v[4:5], v[0:1] op_sel_hi:[1,0,1] neg_lo:[0,1,0] neg_hi:[0,1,0]
	ds_load_b128 v[0:3], v37 offset:128
	ds_load_2addr_b64 v[4:7], v44 offset1:32
	s_wait_dscnt 0x2
	v_pk_fma_f32 v[32:33], v[28:29], v[8:9], v[32:33] op_sel:[1,0,0] op_sel_hi:[0,0,1] neg_lo:[1,0,0]
	v_pk_fma_f32 v[8:9], v[28:29], v[8:9], v[32:33] op_sel:[0,1,0] neg_lo:[0,1,0] neg_hi:[0,1,0]
	s_delay_alu instid0(VALU_DEP_1) | instskip(NEXT) | instid1(VALU_DEP_1)
	v_pk_fma_f32 v[8:9], v[30:31], v[10:11], v[8:9] op_sel:[1,0,0] op_sel_hi:[0,0,1] neg_lo:[1,0,0]
	v_pk_fma_f32 v[32:33], v[30:31], v[26:27], v[8:9] op_sel_hi:[1,0,1] neg_lo:[0,1,0] neg_hi:[0,1,0]
	ds_load_b128 v[8:11], v37 offset:144
	ds_load_2addr_b64 v[28:31], v44 offset0:64 offset1:96
	s_wait_dscnt 0x2
	v_pk_fma_f32 v[32:33], v[4:5], v[0:1], v[32:33] op_sel:[1,0,0] op_sel_hi:[0,0,1] neg_lo:[1,0,0]
	s_delay_alu instid0(VALU_DEP_1) | instskip(SKIP_1) | instid1(VALU_DEP_2)
	v_pk_fma_f32 v[0:1], v[4:5], v[0:1], v[32:33] op_sel:[0,1,0] neg_lo:[0,1,0] neg_hi:[0,1,0]
	v_mov_b32_e32 v4, v3
	v_pk_fma_f32 v[0:1], v[6:7], v[2:3], v[0:1] op_sel:[1,0,0] op_sel_hi:[0,0,1] neg_lo:[1,0,0]
	s_wait_dscnt 0x1
	v_mov_b32_e32 v26, v11
	s_delay_alu instid0(VALU_DEP_2) | instskip(SKIP_4) | instid1(VALU_DEP_1)
	v_pk_fma_f32 v[32:33], v[6:7], v[4:5], v[0:1] op_sel_hi:[1,0,1] neg_lo:[0,1,0] neg_hi:[0,1,0]
	ds_load_b128 v[0:3], v37 offset:160
	ds_load_2addr_b64 v[4:7], v44 offset0:128 offset1:160
	s_wait_dscnt 0x2
	v_pk_fma_f32 v[32:33], v[28:29], v[8:9], v[32:33] op_sel:[1,0,0] op_sel_hi:[0,0,1] neg_lo:[1,0,0]
	v_pk_fma_f32 v[8:9], v[28:29], v[8:9], v[32:33] op_sel:[0,1,0] neg_lo:[0,1,0] neg_hi:[0,1,0]
	s_delay_alu instid0(VALU_DEP_1)
	v_pk_fma_f32 v[28:29], v[30:31], v[10:11], v[8:9] op_sel:[1,0,0] op_sel_hi:[0,0,1] neg_lo:[1,0,0]
	ds_load_2addr_b64 v[8:11], v44 offset0:192 offset1:224
	v_pk_fma_f32 v[32:33], v[30:31], v[26:27], v[28:29] op_sel_hi:[1,0,1] neg_lo:[0,1,0] neg_hi:[0,1,0]
	ds_load_b128 v[28:31], v37 offset:176
	s_wait_dscnt 0x2
	v_pk_fma_f32 v[32:33], v[4:5], v[0:1], v[32:33] op_sel:[1,0,0] op_sel_hi:[0,0,1] neg_lo:[1,0,0]
	s_delay_alu instid0(VALU_DEP_1) | instskip(SKIP_1) | instid1(VALU_DEP_2)
	v_pk_fma_f32 v[0:1], v[4:5], v[0:1], v[32:33] op_sel:[0,1,0] neg_lo:[0,1,0] neg_hi:[0,1,0]
	v_mov_b32_e32 v4, v3
	v_pk_fma_f32 v[32:33], v[6:7], v[2:3], v[0:1] op_sel:[1,0,0] op_sel_hi:[0,0,1] neg_lo:[1,0,0]
	ds_load_2addr_b64 v[0:3], v46 offset1:32
	s_wait_dscnt 0x2
	v_xor_b32_e32 v53, 0x80000000, v9
	v_mov_b32_e32 v52, v8
	v_pk_fma_f32 v[32:33], v[6:7], v[4:5], v[32:33] op_sel_hi:[1,0,1] neg_lo:[0,1,0] neg_hi:[0,1,0]
	ds_load_b128 v[4:7], v37 offset:192
	s_wait_dscnt 0x2
	v_mov_b32_e32 v26, v31
	v_pk_fma_f32 v[32:33], v[52:53], v[28:29], v[32:33] op_sel:[0,0,1] op_sel_hi:[1,0,0]
	v_xor_b32_e32 v53, 0x80000000, v11
	v_mov_b32_e32 v52, v10
	s_delay_alu instid0(VALU_DEP_3) | instskip(NEXT) | instid1(VALU_DEP_1)
	v_pk_fma_f32 v[8:9], v[8:9], v[28:29], v[32:33] op_sel:[1,1,0] op_sel_hi:[0,1,1] neg_lo:[0,1,0] neg_hi:[0,1,0]
	v_pk_fma_f32 v[8:9], v[52:53], v[30:31], v[8:9] op_sel_hi:[1,0,1]
	ds_load_2addr_b64 v[28:31], v46 offset0:64 offset1:96
	s_wait_dscnt 0x2
	v_xor_b32_e32 v33, 0x80000000, v1
	v_mov_b32_e32 v32, v0
	v_pk_fma_f32 v[52:53], v[10:11], v[26:27], v[8:9] op_sel:[1,0,0] op_sel_hi:[0,0,1] neg_lo:[0,1,0] neg_hi:[0,1,0]
	ds_load_b128 v[8:11], v37 offset:208
	s_wait_dscnt 0x2
	v_mov_b32_e32 v26, v7
	v_pk_fma_f32 v[32:33], v[32:33], v[4:5], v[52:53] op_sel_hi:[1,0,1]
	v_xor_b32_e32 v53, 0x80000000, v3
	v_mov_b32_e32 v52, v2
	s_delay_alu instid0(VALU_DEP_3) | instskip(NEXT) | instid1(VALU_DEP_1)
	v_pk_fma_f32 v[0:1], v[0:1], v[4:5], v[32:33] op_sel:[1,1,0] op_sel_hi:[0,1,1] neg_lo:[0,1,0] neg_hi:[0,1,0]
	v_pk_fma_f32 v[0:1], v[52:53], v[6:7], v[0:1] op_sel_hi:[1,0,1]
	ds_load_2addr_b64 v[4:7], v46 offset0:128 offset1:160
	s_wait_dscnt 0x2
	v_xor_b32_e32 v33, 0x80000000, v29
	v_mov_b32_e32 v32, v28
	v_pk_fma_f32 v[52:53], v[2:3], v[26:27], v[0:1] op_sel:[1,0,0] op_sel_hi:[0,0,1] neg_lo:[0,1,0] neg_hi:[0,1,0]
	ds_load_b128 v[0:3], v37 offset:224
	s_wait_dscnt 0x2
	v_mov_b32_e32 v26, v11
	v_pk_fma_f32 v[32:33], v[32:33], v[8:9], v[52:53] op_sel_hi:[1,0,1]
	v_xor_b32_e32 v53, 0x80000000, v31
	v_mov_b32_e32 v52, v30
	s_delay_alu instid0(VALU_DEP_3) | instskip(NEXT) | instid1(VALU_DEP_1)
	v_pk_fma_f32 v[8:9], v[28:29], v[8:9], v[32:33] op_sel:[1,1,0] op_sel_hi:[0,1,1] neg_lo:[0,1,0] neg_hi:[0,1,0]
	v_pk_fma_f32 v[28:29], v[52:53], v[10:11], v[8:9] op_sel_hi:[1,0,1]
	ds_load_2addr_b64 v[8:11], v46 offset0:192 offset1:224
	s_wait_dscnt 0x2
	v_xor_b32_e32 v33, 0x80000000, v5
	v_mov_b32_e32 v32, v4
	v_pk_fma_f32 v[52:53], v[30:31], v[26:27], v[28:29] op_sel:[1,0,0] op_sel_hi:[0,0,1] neg_lo:[0,1,0] neg_hi:[0,1,0]
	ds_load_b128 v[28:31], v37 offset:240
	s_wait_dscnt 0x2
	v_pk_fma_f32 v[32:33], v[32:33], v[0:1], v[52:53] op_sel_hi:[1,0,1]
	v_xor_b32_e32 v53, 0x80000000, v7
	v_mov_b32_e32 v52, v6
	s_delay_alu instid0(VALU_DEP_3) | instskip(SKIP_1) | instid1(VALU_DEP_2)
	v_pk_fma_f32 v[0:1], v[4:5], v[0:1], v[32:33] op_sel:[1,1,0] op_sel_hi:[0,1,1] neg_lo:[0,1,0] neg_hi:[0,1,0]
	v_mov_b32_e32 v4, v3
	v_pk_fma_f32 v[0:1], v[52:53], v[2:3], v[0:1] op_sel_hi:[1,0,1]
	s_wait_dscnt 0x1
	v_xor_b32_e32 v3, 0x80000000, v9
	v_mov_b32_e32 v2, v8
	s_delay_alu instid0(VALU_DEP_3) | instskip(SKIP_1) | instid1(VALU_DEP_1)
	v_pk_fma_f32 v[0:1], v[6:7], v[4:5], v[0:1] op_sel:[1,0,0] op_sel_hi:[0,0,1] neg_lo:[0,1,0] neg_hi:[0,1,0]
	s_wait_dscnt 0x0
	v_pk_fma_f32 v[0:1], v[2:3], v[28:29], v[0:1] op_sel_hi:[1,0,1]
	v_xor_b32_e32 v3, 0x80000000, v11
	v_mov_b32_e32 v2, v10
	s_delay_alu instid0(VALU_DEP_3) | instskip(NEXT) | instid1(VALU_DEP_1)
	v_pk_fma_f32 v[0:1], v[8:9], v[28:29], v[0:1] op_sel:[1,1,0] op_sel_hi:[0,1,1] neg_lo:[0,1,0] neg_hi:[0,1,0]
	v_pk_fma_f32 v[0:1], v[2:3], v[30:31], v[0:1] op_sel_hi:[1,0,1]
	v_mov_b32_e32 v2, v31
	s_delay_alu instid0(VALU_DEP_1)
	v_pk_fma_f32 v[4:5], v[10:11], v[2:3], v[0:1] op_sel:[1,0,0] op_sel_hi:[0,0,1] neg_lo:[0,1,0] neg_hi:[0,1,0]
	s_branch .LBB6_10
.LBB6_41:                               ;   in Loop: Header=BB6_12 Depth=3
	s_mov_b32 s35, 0
                                        ; implicit-def: $vgpr2
	s_cbranch_execz .LBB6_26
.LBB6_42:                               ;   in Loop: Header=BB6_12 Depth=3
                                        ; implicit-def: $vgpr2
	s_and_saveexec_b32 s37, s36
; %bb.43:                               ;   in Loop: Header=BB6_12 Depth=3
	v_add_nc_u32_e32 v2, v0, v49
	s_or_b32 s35, s35, exec_lo
; %bb.44:                               ;   in Loop: Header=BB6_12 Depth=3
	s_or_b32 exec_lo, exec_lo, s37
	v_dual_mov_b32 v0, 0 :: v_dual_mov_b32 v1, 0
	s_and_saveexec_b32 s36, s35
	s_cbranch_execnz .LBB6_27
	s_branch .LBB6_28
.LBB6_45:                               ;   in Loop: Header=BB6_6 Depth=1
	v_add_nc_u32_e32 v2, s24, v47
	s_and_b32 vcc_lo, exec_lo, s20
	s_mov_b32 s1, -1
                                        ; implicit-def: $vgpr0_vgpr1
	s_delay_alu instid0(VALU_DEP_1)
	v_ashrrev_i32_e32 v3, 31, v2
	s_cbranch_vccnz .LBB6_48
; %bb.46:                               ;   in Loop: Header=BB6_6 Depth=1
	s_and_not1_b32 vcc_lo, exec_lo, s1
	s_cbranch_vccz .LBB6_49
.LBB6_47:                               ;   in Loop: Header=BB6_6 Depth=1
	v_cmp_gt_i32_e32 vcc_lo, s3, v47
	s_and_b32 s30, s27, vcc_lo
	s_delay_alu instid0(SALU_CYCLE_1)
	s_and_saveexec_b32 s1, s30
	s_cbranch_execz .LBB6_5
	s_branch .LBB6_50
.LBB6_48:                               ;   in Loop: Header=BB6_6 Depth=1
	v_mad_nc_u64_u32 v[0:1], s18, v2, v[16:17]
	s_delay_alu instid0(VALU_DEP_1) | instskip(NEXT) | instid1(VALU_DEP_1)
	v_mad_u32 v1, s19, v2, v1
	v_mad_u32 v1, s18, v3, v1
	s_cbranch_execnz .LBB6_47
.LBB6_49:                               ;   in Loop: Header=BB6_6 Depth=1
	v_mul_u64_e32 v[0:1], s[18:19], v[16:17]
	s_delay_alu instid0(VALU_DEP_1) | instskip(SKIP_2) | instid1(SALU_CYCLE_1)
	v_add_nc_u64_e32 v[0:1], v[0:1], v[2:3]
	v_cmp_gt_i32_e32 vcc_lo, s3, v47
	s_and_b32 s30, s27, vcc_lo
	s_and_saveexec_b32 s1, s30
	s_cbranch_execz .LBB6_5
.LBB6_50:                               ;   in Loop: Header=BB6_6 Depth=1
	v_pk_mul_f32 v[2:3], v[28:29], v[18:19] op_sel:[1,0]
	s_delay_alu instid0(VALU_DEP_3) | instskip(NEXT) | instid1(VALU_DEP_2)
	v_lshl_add_u64 v[0:1], v[0:1], 3, s[16:17]
	v_pk_fma_f32 v[2:3], v[12:13], v[28:29], v[2:3] op_sel_hi:[1,0,1]
	s_and_saveexec_b32 s30, s28
	s_delay_alu instid0(SALU_CYCLE_1)
	s_xor_b32 s30, exec_lo, s30
	s_cbranch_execz .LBB6_52
; %bb.51:                               ;   in Loop: Header=BB6_6 Depth=1
	global_load_b64 v[4:5], v[0:1], off
	s_wait_loadcnt 0x0
	v_pk_fma_f32 v[2:3], v[14:15], v[4:5], v[2:3] op_sel_hi:[1,0,1]
	s_delay_alu instid0(VALU_DEP_1)
	v_pk_fma_f32 v[2:3], v[20:21], v[4:5], v[2:3] op_sel:[0,1,0]
	global_store_b64 v[0:1], v[2:3], off
                                        ; implicit-def: $vgpr0_vgpr1
                                        ; implicit-def: $vgpr2_vgpr3
.LBB6_52:                               ;   in Loop: Header=BB6_6 Depth=1
	s_wait_xcnt 0x0
	s_and_not1_saveexec_b32 s30, s30
	s_cbranch_execz .LBB6_5
; %bb.53:                               ;   in Loop: Header=BB6_6 Depth=1
	global_store_b64 v[0:1], v[2:3], off
	s_branch .LBB6_5
.LBB6_54:
	s_endpgm
	.section	.rodata,"a",@progbits
	.p2align	6, 0x0
	.amdhsa_kernel _ZN9rocsparseL30bellmm_general_blockdim_kernelILi32ELi32E21rocsparse_complex_numIfEiS2_S2_S2_EEv20rocsparse_operation_S3_20rocsparse_direction_T2_S5_NS_24const_host_device_scalarIT1_EES5_S5_PKS5_PKT3_PKT4_l16rocsparse_order_S8_PT5_lSH_21rocsparse_index_base_b
		.amdhsa_group_segment_fixed_size 16384
		.amdhsa_private_segment_fixed_size 0
		.amdhsa_kernarg_size 116
		.amdhsa_user_sgpr_count 2
		.amdhsa_user_sgpr_dispatch_ptr 0
		.amdhsa_user_sgpr_queue_ptr 0
		.amdhsa_user_sgpr_kernarg_segment_ptr 1
		.amdhsa_user_sgpr_dispatch_id 0
		.amdhsa_user_sgpr_kernarg_preload_length 0
		.amdhsa_user_sgpr_kernarg_preload_offset 0
		.amdhsa_user_sgpr_private_segment_size 0
		.amdhsa_wavefront_size32 1
		.amdhsa_uses_dynamic_stack 0
		.amdhsa_enable_private_segment 0
		.amdhsa_system_sgpr_workgroup_id_x 1
		.amdhsa_system_sgpr_workgroup_id_y 1
		.amdhsa_system_sgpr_workgroup_id_z 0
		.amdhsa_system_sgpr_workgroup_info 0
		.amdhsa_system_vgpr_workitem_id 1
		.amdhsa_next_free_vgpr 60
		.amdhsa_next_free_sgpr 39
		.amdhsa_named_barrier_count 0
		.amdhsa_reserve_vcc 1
		.amdhsa_float_round_mode_32 0
		.amdhsa_float_round_mode_16_64 0
		.amdhsa_float_denorm_mode_32 3
		.amdhsa_float_denorm_mode_16_64 3
		.amdhsa_fp16_overflow 0
		.amdhsa_memory_ordered 1
		.amdhsa_forward_progress 1
		.amdhsa_inst_pref_size 48
		.amdhsa_round_robin_scheduling 0
		.amdhsa_exception_fp_ieee_invalid_op 0
		.amdhsa_exception_fp_denorm_src 0
		.amdhsa_exception_fp_ieee_div_zero 0
		.amdhsa_exception_fp_ieee_overflow 0
		.amdhsa_exception_fp_ieee_underflow 0
		.amdhsa_exception_fp_ieee_inexact 0
		.amdhsa_exception_int_div_zero 0
	.end_amdhsa_kernel
	.section	.text._ZN9rocsparseL30bellmm_general_blockdim_kernelILi32ELi32E21rocsparse_complex_numIfEiS2_S2_S2_EEv20rocsparse_operation_S3_20rocsparse_direction_T2_S5_NS_24const_host_device_scalarIT1_EES5_S5_PKS5_PKT3_PKT4_l16rocsparse_order_S8_PT5_lSH_21rocsparse_index_base_b,"axG",@progbits,_ZN9rocsparseL30bellmm_general_blockdim_kernelILi32ELi32E21rocsparse_complex_numIfEiS2_S2_S2_EEv20rocsparse_operation_S3_20rocsparse_direction_T2_S5_NS_24const_host_device_scalarIT1_EES5_S5_PKS5_PKT3_PKT4_l16rocsparse_order_S8_PT5_lSH_21rocsparse_index_base_b,comdat
.Lfunc_end6:
	.size	_ZN9rocsparseL30bellmm_general_blockdim_kernelILi32ELi32E21rocsparse_complex_numIfEiS2_S2_S2_EEv20rocsparse_operation_S3_20rocsparse_direction_T2_S5_NS_24const_host_device_scalarIT1_EES5_S5_PKS5_PKT3_PKT4_l16rocsparse_order_S8_PT5_lSH_21rocsparse_index_base_b, .Lfunc_end6-_ZN9rocsparseL30bellmm_general_blockdim_kernelILi32ELi32E21rocsparse_complex_numIfEiS2_S2_S2_EEv20rocsparse_operation_S3_20rocsparse_direction_T2_S5_NS_24const_host_device_scalarIT1_EES5_S5_PKS5_PKT3_PKT4_l16rocsparse_order_S8_PT5_lSH_21rocsparse_index_base_b
                                        ; -- End function
	.set _ZN9rocsparseL30bellmm_general_blockdim_kernelILi32ELi32E21rocsparse_complex_numIfEiS2_S2_S2_EEv20rocsparse_operation_S3_20rocsparse_direction_T2_S5_NS_24const_host_device_scalarIT1_EES5_S5_PKS5_PKT3_PKT4_l16rocsparse_order_S8_PT5_lSH_21rocsparse_index_base_b.num_vgpr, 60
	.set _ZN9rocsparseL30bellmm_general_blockdim_kernelILi32ELi32E21rocsparse_complex_numIfEiS2_S2_S2_EEv20rocsparse_operation_S3_20rocsparse_direction_T2_S5_NS_24const_host_device_scalarIT1_EES5_S5_PKS5_PKT3_PKT4_l16rocsparse_order_S8_PT5_lSH_21rocsparse_index_base_b.num_agpr, 0
	.set _ZN9rocsparseL30bellmm_general_blockdim_kernelILi32ELi32E21rocsparse_complex_numIfEiS2_S2_S2_EEv20rocsparse_operation_S3_20rocsparse_direction_T2_S5_NS_24const_host_device_scalarIT1_EES5_S5_PKS5_PKT3_PKT4_l16rocsparse_order_S8_PT5_lSH_21rocsparse_index_base_b.numbered_sgpr, 39
	.set _ZN9rocsparseL30bellmm_general_blockdim_kernelILi32ELi32E21rocsparse_complex_numIfEiS2_S2_S2_EEv20rocsparse_operation_S3_20rocsparse_direction_T2_S5_NS_24const_host_device_scalarIT1_EES5_S5_PKS5_PKT3_PKT4_l16rocsparse_order_S8_PT5_lSH_21rocsparse_index_base_b.num_named_barrier, 0
	.set _ZN9rocsparseL30bellmm_general_blockdim_kernelILi32ELi32E21rocsparse_complex_numIfEiS2_S2_S2_EEv20rocsparse_operation_S3_20rocsparse_direction_T2_S5_NS_24const_host_device_scalarIT1_EES5_S5_PKS5_PKT3_PKT4_l16rocsparse_order_S8_PT5_lSH_21rocsparse_index_base_b.private_seg_size, 0
	.set _ZN9rocsparseL30bellmm_general_blockdim_kernelILi32ELi32E21rocsparse_complex_numIfEiS2_S2_S2_EEv20rocsparse_operation_S3_20rocsparse_direction_T2_S5_NS_24const_host_device_scalarIT1_EES5_S5_PKS5_PKT3_PKT4_l16rocsparse_order_S8_PT5_lSH_21rocsparse_index_base_b.uses_vcc, 1
	.set _ZN9rocsparseL30bellmm_general_blockdim_kernelILi32ELi32E21rocsparse_complex_numIfEiS2_S2_S2_EEv20rocsparse_operation_S3_20rocsparse_direction_T2_S5_NS_24const_host_device_scalarIT1_EES5_S5_PKS5_PKT3_PKT4_l16rocsparse_order_S8_PT5_lSH_21rocsparse_index_base_b.uses_flat_scratch, 1
	.set _ZN9rocsparseL30bellmm_general_blockdim_kernelILi32ELi32E21rocsparse_complex_numIfEiS2_S2_S2_EEv20rocsparse_operation_S3_20rocsparse_direction_T2_S5_NS_24const_host_device_scalarIT1_EES5_S5_PKS5_PKT3_PKT4_l16rocsparse_order_S8_PT5_lSH_21rocsparse_index_base_b.has_dyn_sized_stack, 0
	.set _ZN9rocsparseL30bellmm_general_blockdim_kernelILi32ELi32E21rocsparse_complex_numIfEiS2_S2_S2_EEv20rocsparse_operation_S3_20rocsparse_direction_T2_S5_NS_24const_host_device_scalarIT1_EES5_S5_PKS5_PKT3_PKT4_l16rocsparse_order_S8_PT5_lSH_21rocsparse_index_base_b.has_recursion, 0
	.set _ZN9rocsparseL30bellmm_general_blockdim_kernelILi32ELi32E21rocsparse_complex_numIfEiS2_S2_S2_EEv20rocsparse_operation_S3_20rocsparse_direction_T2_S5_NS_24const_host_device_scalarIT1_EES5_S5_PKS5_PKT3_PKT4_l16rocsparse_order_S8_PT5_lSH_21rocsparse_index_base_b.has_indirect_call, 0
	.section	.AMDGPU.csdata,"",@progbits
; Kernel info:
; codeLenInByte = 6088
; TotalNumSgprs: 41
; NumVgprs: 60
; ScratchSize: 0
; MemoryBound: 0
; FloatMode: 240
; IeeeMode: 1
; LDSByteSize: 16384 bytes/workgroup (compile time only)
; SGPRBlocks: 0
; VGPRBlocks: 3
; NumSGPRsForWavesPerEU: 41
; NumVGPRsForWavesPerEU: 60
; NamedBarCnt: 0
; Occupancy: 16
; WaveLimiterHint : 0
; COMPUTE_PGM_RSRC2:SCRATCH_EN: 0
; COMPUTE_PGM_RSRC2:USER_SGPR: 2
; COMPUTE_PGM_RSRC2:TRAP_HANDLER: 0
; COMPUTE_PGM_RSRC2:TGID_X_EN: 1
; COMPUTE_PGM_RSRC2:TGID_Y_EN: 1
; COMPUTE_PGM_RSRC2:TGID_Z_EN: 0
; COMPUTE_PGM_RSRC2:TIDIG_COMP_CNT: 1
	.section	.text._ZN9rocsparseL30bellmm_general_blockdim_kernelILi32ELi32E21rocsparse_complex_numIfElS2_S2_S2_EEv20rocsparse_operation_S3_20rocsparse_direction_T2_S5_NS_24const_host_device_scalarIT1_EES5_S5_PKS5_PKT3_PKT4_l16rocsparse_order_S8_PT5_lSH_21rocsparse_index_base_b,"axG",@progbits,_ZN9rocsparseL30bellmm_general_blockdim_kernelILi32ELi32E21rocsparse_complex_numIfElS2_S2_S2_EEv20rocsparse_operation_S3_20rocsparse_direction_T2_S5_NS_24const_host_device_scalarIT1_EES5_S5_PKS5_PKT3_PKT4_l16rocsparse_order_S8_PT5_lSH_21rocsparse_index_base_b,comdat
	.globl	_ZN9rocsparseL30bellmm_general_blockdim_kernelILi32ELi32E21rocsparse_complex_numIfElS2_S2_S2_EEv20rocsparse_operation_S3_20rocsparse_direction_T2_S5_NS_24const_host_device_scalarIT1_EES5_S5_PKS5_PKT3_PKT4_l16rocsparse_order_S8_PT5_lSH_21rocsparse_index_base_b ; -- Begin function _ZN9rocsparseL30bellmm_general_blockdim_kernelILi32ELi32E21rocsparse_complex_numIfElS2_S2_S2_EEv20rocsparse_operation_S3_20rocsparse_direction_T2_S5_NS_24const_host_device_scalarIT1_EES5_S5_PKS5_PKT3_PKT4_l16rocsparse_order_S8_PT5_lSH_21rocsparse_index_base_b
	.p2align	8
	.type	_ZN9rocsparseL30bellmm_general_blockdim_kernelILi32ELi32E21rocsparse_complex_numIfElS2_S2_S2_EEv20rocsparse_operation_S3_20rocsparse_direction_T2_S5_NS_24const_host_device_scalarIT1_EES5_S5_PKS5_PKT3_PKT4_l16rocsparse_order_S8_PT5_lSH_21rocsparse_index_base_b,@function
_ZN9rocsparseL30bellmm_general_blockdim_kernelILi32ELi32E21rocsparse_complex_numIfElS2_S2_S2_EEv20rocsparse_operation_S3_20rocsparse_direction_T2_S5_NS_24const_host_device_scalarIT1_EES5_S5_PKS5_PKT3_PKT4_l16rocsparse_order_S8_PT5_lSH_21rocsparse_index_base_b: ; @_ZN9rocsparseL30bellmm_general_blockdim_kernelILi32ELi32E21rocsparse_complex_numIfElS2_S2_S2_EEv20rocsparse_operation_S3_20rocsparse_direction_T2_S5_NS_24const_host_device_scalarIT1_EES5_S5_PKS5_PKT3_PKT4_l16rocsparse_order_S8_PT5_lSH_21rocsparse_index_base_b
; %bb.0:
	s_clause 0x2
	s_load_b96 s[20:22], s[0:1], 0x78
	s_load_b256 s[8:15], s[0:1], 0x10
	s_load_b64 s[2:3], s[0:1], 0x60
	v_mov_b32_e32 v1, 0
	s_add_nc_u64 s[4:5], s[0:1], 32
	s_add_nc_u64 s[6:7], s[0:1], 0x60
	s_mov_b32 s23, 0
	s_wait_kmcnt 0x0
	s_bitcmp1_b32 s22, 0
	s_cselect_b32 s5, s5, s13
	s_cselect_b32 s4, s4, s12
	;; [unrolled: 1-line block ×4, first 2 shown]
	s_clause 0x1
	flat_load_b64 v[4:5], v1, s[4:5]
	flat_load_b64 v[6:7], v1, s[2:3]
	s_wait_loadcnt_dscnt 0x101
	v_cmp_eq_f32_e32 vcc_lo, 0, v4
	s_wait_xcnt 0x0
	v_cmp_eq_f32_e64 s3, 0, v5
	s_wait_loadcnt_dscnt 0x0
	v_cmp_eq_f32_e64 s4, 1.0, v6
	v_cmp_eq_f32_e64 s2, 0, v7
	s_and_b32 s3, vcc_lo, s3
	s_and_b32 s4, s4, s2
	s_delay_alu instid0(SALU_CYCLE_1) | instskip(NEXT) | instid1(SALU_CYCLE_1)
	s_and_b32 s3, s3, s4
	s_xor_b32 s3, s3, -1
	s_delay_alu instid0(SALU_CYCLE_1)
	s_and_saveexec_b32 s4, s3
	s_cbranch_execz .LBB7_52
; %bb.1:
	s_bfe_u32 s3, ttmp6, 0x4000c
	s_load_b64 s[28:29], s[0:1], 0x30
	s_add_co_i32 s3, s3, 1
	s_and_b32 s4, ttmp6, 15
	s_mul_i32 s3, ttmp9, s3
	s_getreg_b32 s27, hwreg(HW_REG_IB_STS2, 6, 4)
	s_add_co_i32 s4, s4, s3
	s_cmp_eq_u32 s27, 0
	s_mov_b64 s[30:31], 0
	s_cselect_b32 s22, ttmp9, s4
	s_delay_alu instid0(SALU_CYCLE_1)
	v_cmp_le_i64_e64 s4, s[8:9], s[22:23]
	v_cmp_gt_i64_e64 s3, s[8:9], s[22:23]
	s_and_b32 vcc_lo, exec_lo, s4
	s_cbranch_vccnz .LBB7_5
; %bb.2:
	s_wait_kmcnt 0x0
	s_or_b64 s[4:5], s[14:15], s[28:29]
	s_delay_alu instid0(SALU_CYCLE_1) | instskip(NEXT) | instid1(SALU_CYCLE_1)
	s_and_b64 s[4:5], s[4:5], 0xffffffff00000000
	s_cmp_lg_u64 s[4:5], 0
	s_cbranch_scc0 .LBB7_53
; %bb.3:
	s_ashr_i32 s4, s29, 31
	s_delay_alu instid0(SALU_CYCLE_1) | instskip(NEXT) | instid1(SALU_CYCLE_1)
	s_mov_b32 s5, s4
	s_add_nc_u64 s[6:7], s[28:29], s[4:5]
	s_delay_alu instid0(SALU_CYCLE_1) | instskip(NEXT) | instid1(SALU_CYCLE_1)
	s_xor_b64 s[6:7], s[6:7], s[4:5]
	s_cvt_f32_u32 s12, s6
	s_cvt_f32_u32 s13, s7
	s_sub_nc_u64 s[18:19], 0, s[6:7]
	s_delay_alu instid0(SALU_CYCLE_2) | instskip(NEXT) | instid1(SALU_CYCLE_3)
	s_fmamk_f32 s12, s13, 0x4f800000, s12
	v_s_rcp_f32 s12, s12
	s_delay_alu instid0(TRANS32_DEP_1) | instskip(NEXT) | instid1(SALU_CYCLE_3)
	s_mul_f32 s12, s12, 0x5f7ffffc
	s_mul_f32 s13, s12, 0x2f800000
	s_delay_alu instid0(SALU_CYCLE_3) | instskip(NEXT) | instid1(SALU_CYCLE_3)
	s_trunc_f32 s13, s13
	s_fmamk_f32 s12, s13, 0xcf800000, s12
	s_cvt_u32_f32 s17, s13
	s_mov_b32 s13, 0
	s_delay_alu instid0(SALU_CYCLE_1) | instskip(NEXT) | instid1(SALU_CYCLE_3)
	s_cvt_u32_f32 s16, s12
	s_mul_u64 s[24:25], s[18:19], s[16:17]
	s_delay_alu instid0(SALU_CYCLE_1)
	s_mul_hi_u32 s31, s16, s25
	s_mul_i32 s30, s16, s25
	s_mul_hi_u32 s12, s16, s24
	s_mul_i32 s33, s17, s24
	s_add_nc_u64 s[30:31], s[12:13], s[30:31]
	s_mul_hi_u32 s26, s17, s24
	s_mul_hi_u32 s34, s17, s25
	s_add_co_u32 s12, s30, s33
	s_add_co_ci_u32 s12, s31, s26
	s_mul_i32 s24, s17, s25
	s_add_co_ci_u32 s25, s34, 0
	s_delay_alu instid0(SALU_CYCLE_1) | instskip(NEXT) | instid1(SALU_CYCLE_1)
	s_add_nc_u64 s[24:25], s[12:13], s[24:25]
	s_add_co_u32 s16, s16, s24
	s_cselect_b32 s12, -1, 0
	s_delay_alu instid0(SALU_CYCLE_1) | instskip(SKIP_1) | instid1(SALU_CYCLE_1)
	s_cmp_lg_u32 s12, 0
	s_add_co_ci_u32 s17, s17, s25
	s_mul_u64 s[18:19], s[18:19], s[16:17]
	s_delay_alu instid0(SALU_CYCLE_1)
	s_mul_hi_u32 s25, s16, s19
	s_mul_i32 s24, s16, s19
	s_mul_hi_u32 s12, s16, s18
	s_mul_i32 s30, s17, s18
	s_add_nc_u64 s[24:25], s[12:13], s[24:25]
	s_mul_hi_u32 s26, s17, s18
	s_mul_hi_u32 s31, s17, s19
	s_add_co_u32 s12, s24, s30
	s_add_co_ci_u32 s12, s25, s26
	s_mul_i32 s18, s17, s19
	s_add_co_ci_u32 s19, s31, 0
	s_delay_alu instid0(SALU_CYCLE_1) | instskip(NEXT) | instid1(SALU_CYCLE_1)
	s_add_nc_u64 s[18:19], s[12:13], s[18:19]
	s_add_co_u32 s26, s16, s18
	s_cselect_b32 s12, -1, 0
	s_delay_alu instid0(SALU_CYCLE_1) | instskip(SKIP_2) | instid1(SALU_CYCLE_1)
	s_cmp_lg_u32 s12, 0
	s_add_co_ci_u32 s30, s17, s19
	s_ashr_i32 s16, s15, 31
	s_mov_b32 s17, s16
	s_delay_alu instid0(SALU_CYCLE_1) | instskip(NEXT) | instid1(SALU_CYCLE_1)
	s_add_nc_u64 s[18:19], s[14:15], s[16:17]
	s_xor_b64 s[18:19], s[18:19], s[16:17]
	s_delay_alu instid0(SALU_CYCLE_1)
	s_mul_hi_u32 s25, s18, s30
	s_mul_i32 s24, s18, s30
	s_mul_hi_u32 s12, s18, s26
	s_mul_hi_u32 s31, s19, s26
	s_mul_i32 s26, s19, s26
	s_add_nc_u64 s[24:25], s[12:13], s[24:25]
	s_mul_hi_u32 s15, s19, s30
	s_add_co_u32 s12, s24, s26
	s_add_co_ci_u32 s12, s25, s31
	s_mul_i32 s30, s19, s30
	s_add_co_ci_u32 s31, s15, 0
	s_delay_alu instid0(SALU_CYCLE_1) | instskip(NEXT) | instid1(SALU_CYCLE_1)
	s_add_nc_u64 s[24:25], s[12:13], s[30:31]
	s_and_b64 s[30:31], s[24:25], 0xffffffff00000000
	s_delay_alu instid0(SALU_CYCLE_1) | instskip(NEXT) | instid1(SALU_CYCLE_1)
	s_or_b32 s30, s30, s24
	s_mul_u64 s[24:25], s[6:7], s[30:31]
	s_add_nc_u64 s[34:35], s[30:31], 1
	s_sub_co_u32 s12, s18, s24
	s_cselect_b32 s15, -1, 0
	s_sub_co_i32 s18, s19, s25
	s_cmp_lg_u32 s15, 0
	s_add_nc_u64 s[36:37], s[30:31], 2
	s_sub_co_ci_u32 s18, s18, s7
	s_sub_co_u32 s24, s12, s6
	s_cselect_b32 s26, -1, 0
	s_delay_alu instid0(SALU_CYCLE_1) | instskip(SKIP_1) | instid1(SALU_CYCLE_1)
	s_cmp_lg_u32 s26, 0
	s_sub_co_ci_u32 s18, s18, 0
	s_cmp_ge_u32 s18, s7
	s_cselect_b32 s26, -1, 0
	s_cmp_ge_u32 s24, s6
	s_cselect_b32 s24, -1, 0
	s_cmp_eq_u32 s18, s7
	s_cselect_b32 s18, s24, s26
	s_delay_alu instid0(SALU_CYCLE_1) | instskip(SKIP_4) | instid1(SALU_CYCLE_1)
	s_cmp_lg_u32 s18, 0
	s_cselect_b32 s18, s36, s34
	s_cselect_b32 s24, s37, s35
	s_cmp_lg_u32 s15, 0
	s_sub_co_ci_u32 s15, s19, s25
	s_cmp_ge_u32 s15, s7
	s_cselect_b32 s19, -1, 0
	s_cmp_ge_u32 s12, s6
	s_cselect_b32 s6, -1, 0
	s_cmp_eq_u32 s15, s7
	s_cselect_b32 s6, s6, s19
	s_delay_alu instid0(SALU_CYCLE_1) | instskip(SKIP_3) | instid1(SALU_CYCLE_1)
	s_cmp_lg_u32 s6, 0
	s_cselect_b32 s7, s24, s31
	s_cselect_b32 s6, s18, s30
	s_xor_b64 s[4:5], s[16:17], s[4:5]
	s_xor_b64 s[6:7], s[6:7], s[4:5]
	s_delay_alu instid0(SALU_CYCLE_1)
	s_sub_nc_u64 s[30:31], s[6:7], s[4:5]
	s_cbranch_execnz .LBB7_5
.LBB7_4:
	v_cvt_f32_u32_e32 v1, s28
	s_sub_co_i32 s5, 0, s28
	s_mov_b32 s31, 0
	s_delay_alu instid0(VALU_DEP_1) | instskip(SKIP_1) | instid1(TRANS32_DEP_1)
	v_rcp_iflag_f32_e32 v1, v1
	v_nop
	v_mul_f32_e32 v1, 0x4f7ffffe, v1
	s_delay_alu instid0(VALU_DEP_1) | instskip(NEXT) | instid1(VALU_DEP_1)
	v_cvt_u32_f32_e32 v1, v1
	v_readfirstlane_b32 s4, v1
	s_mul_i32 s5, s5, s4
	s_delay_alu instid0(SALU_CYCLE_1) | instskip(NEXT) | instid1(SALU_CYCLE_1)
	s_mul_hi_u32 s5, s4, s5
	s_add_co_i32 s4, s4, s5
	s_delay_alu instid0(SALU_CYCLE_1) | instskip(NEXT) | instid1(SALU_CYCLE_1)
	s_mul_hi_u32 s4, s14, s4
	s_mul_i32 s5, s4, s28
	s_add_co_i32 s6, s4, 1
	s_sub_co_i32 s5, s14, s5
	s_delay_alu instid0(SALU_CYCLE_1)
	s_sub_co_i32 s7, s5, s28
	s_cmp_ge_u32 s5, s28
	s_cselect_b32 s4, s6, s4
	s_cselect_b32 s5, s7, s5
	s_add_co_i32 s6, s4, 1
	s_cmp_ge_u32 s5, s28
	s_cselect_b32 s30, s6, s4
.LBB7_5:
	s_wait_kmcnt 0x0
	v_cmp_lt_i64_e64 s4, s[28:29], 1
	s_and_b32 vcc_lo, exec_lo, s4
	s_cbranch_vccnz .LBB7_52
; %bb.6:
	s_clause 0x3
	s_load_b96 s[24:26], s[0:1], 0x0
	s_load_b256 s[12:19], s[0:1], 0x38
	s_load_b128 s[4:7], s[0:1], 0x68
	s_load_b32 s33, s[0:1], 0x58
	s_wait_xcnt 0x0
	s_bfe_u32 s0, ttmp6, 0x40010
	s_bfe_u32 s1, ttmp6, 0x40004
	s_add_co_i32 s0, s0, 1
	v_bfe_u32 v8, v0, 10, 10
	s_mul_i32 s0, ttmp7, s0
	v_and_b32_e32 v10, 0x3ff, v0
	s_add_co_i32 s1, s1, s0
	s_cmp_eq_u32 s27, 0
	v_mov_b32_e32 v9, 0
	s_cselect_b32 s0, ttmp7, s1
	s_mov_b32 s35, 0
	s_lshl_b32 s34, s0, 5
	v_lshlrev_b32_e32 v14, 3, v10
	v_add_nc_u64_e32 v[12:13], s[34:35], v[8:9]
	v_dual_mov_b32 v11, v9 :: v_dual_mov_b32 v15, v9
	s_mul_u64 s[36:37], s[28:29], s[22:23]
	v_dual_mov_b32 v17, v9 :: v_dual_lshlrev_b32 v16, 3, v8
	s_wait_kmcnt 0x0
	s_cmp_eq_u32 s25, 0x6f
	v_lshl_add_u64 v[2:3], s[36:37], 3, v[14:15]
	v_mul_u64_e32 v[0:1], s[18:19], v[12:13]
	v_mul_u64_e32 v[18:19], s[6:7], v[12:13]
	s_cselect_b32 s1, -1, 0
	s_cmp_lg_u32 s33, 1
	v_mad_nc_u64_u32 v[26:27], s28, v2, v[16:17]
	s_cselect_b32 s27, -1, 0
	s_cmp_lg_u32 s26, 0
	s_mov_b32 s34, s21
	s_cselect_b32 s33, -1, 0
	s_cmp_eq_u32 s25, 0x71
	v_cmp_gt_i64_e64 s0, s[10:11], v[12:13]
	s_cselect_b32 s21, -1, 0
	s_cmp_lg_u32 s25, 0x71
	v_or_b32_e32 v28, 0x2000, v14
	s_cselect_b32 s10, -1, 0
	v_mad_u32 v2, s29, v2, v27
	s_cmp_lg_u32 s24, 0x71
	v_dual_lshlrev_b32 v29, 8, v8 :: v_dual_mov_b32 v21, v4
	s_cselect_b32 s11, -1, 0
	v_cmp_neq_f32_e32 vcc_lo, 0, v6
	s_and_b32 s24, s11, s21
	s_or_b32 s42, s11, s10
	s_xor_b32 s43, s24, -1
	s_or_b32 s44, s11, s21
	v_cmp_gt_i64_e64 s49, s[30:31], 0
	s_delay_alu instid0(VALU_DEP_4)
	v_mad_u32 v27, s28, v3, v2
	s_mul_u64 s[38:39], s[28:29], s[28:29]
	s_cmp_lg_u32 s20, 1
	v_lshl_add_u64 v[16:17], v[12:13], 3, s[16:17]
	v_dual_mov_b32 v23, v6 :: v_dual_add_nc_u32 v46, 0x2000, v29
	v_lshl_add_u64 v[0:1], v[0:1], 3, v[14:15]
	v_xor_b32_e32 v20, 0x80000000, v5
	v_xor_b32_e32 v22, 0x80000000, v7
	v_dual_add_nc_u32 v15, v28, v29 :: v_dual_add_nc_u32 v47, v14, v29
	s_delay_alu instid0(VALU_DEP_4)
	v_add_nc_u64_e32 v[24:25], s[16:17], v[0:1]
	v_add_nc_u64_e32 v[26:27], s[14:15], v[26:27]
	v_add_nc_u32_e32 v48, 0x400, v14
	v_add_nc_u32_e32 v49, 0x800, v14
	;; [unrolled: 1-line block ×6, first 2 shown]
	s_cselect_b32 s45, -1, 0
	s_xor_b32 s2, s2, -1
	s_xor_b32 s1, s1, s27
	s_mul_u64 s[16:17], s[38:39], s[8:9]
	s_mov_b64 s[40:41], 0
	s_and_b32 s46, s3, s0
	s_or_b32 s47, vcc_lo, s2
	s_xor_b32 s48, s1, -1
	s_lshl_b64 s[2:3], s[28:29], 3
	s_lshl_b64 s[10:11], s[28:29], 8
	;; [unrolled: 1-line block ×3, first 2 shown]
	s_branch .LBB7_8
.LBB7_7:                                ;   in Loop: Header=BB7_8 Depth=1
	s_wait_xcnt 0x0
	s_or_b32 exec_lo, exec_lo, s1
	s_add_nc_u64 s[40:41], s[40:41], 32
	v_add_nc_u64_e32 v[26:27], s[10:11], v[26:27]
	v_cmp_lt_i64_e64 s1, s[40:41], s[28:29]
	s_and_b32 vcc_lo, exec_lo, s1
	s_cbranch_vccz .LBB7_52
.LBB7_8:                                ; =>This Loop Header: Depth=1
                                        ;     Child Loop BB7_11 Depth 2
                                        ;       Child Loop BB7_14 Depth 3
	v_add_nc_u64_e32 v[28:29], s[40:41], v[10:11]
	v_mov_b64_e32 v[40:41], 0
	s_and_not1_b32 vcc_lo, exec_lo, s49
	s_delay_alu instid0(VALU_DEP_2)
	v_cmp_gt_i64_e64 s1, s[28:29], v[28:29]
	s_cbranch_vccnz .LBB7_43
; %bb.9:                                ;   in Loop: Header=BB7_8 Depth=1
	v_mov_b64_e32 v[32:33], v[26:27]
	v_lshl_add_u64 v[30:31], v[28:29], 3, s[14:15]
	s_mov_b64 s[20:21], 0
	s_branch .LBB7_11
.LBB7_10:                               ;   in Loop: Header=BB7_11 Depth=2
	v_add_nc_u64_e32 v[32:33], s[16:17], v[32:33]
	s_add_nc_u64 s[20:21], s[20:21], 1
	s_delay_alu instid0(SALU_CYCLE_1)
	s_cmp_eq_u64 s[20:21], s[30:31]
	s_cbranch_scc1 .LBB7_43
.LBB7_11:                               ;   Parent Loop BB7_8 Depth=1
                                        ; =>  This Loop Header: Depth=2
                                        ;       Child Loop BB7_14 Depth 3
	s_mul_u64 s[24:25], s[20:21], s[8:9]
	s_delay_alu instid0(VALU_DEP_1) | instskip(SKIP_1) | instid1(SALU_CYCLE_1)
	v_mov_b64_e32 v[38:39], v[32:33]
	s_add_nc_u64 s[24:25], s[24:25], s[22:23]
	s_lshl_b64 s[26:27], s[24:25], 3
	s_mul_u64 s[24:25], s[38:39], s[24:25]
	s_add_nc_u64 s[26:27], s[12:13], s[26:27]
	v_lshl_add_u64 v[36:37], s[24:25], 3, v[30:31]
	s_load_b64 s[26:27], s[26:27], 0x0
	s_wait_kmcnt 0x0
	s_wait_xcnt 0x0
	s_sub_nc_u64 s[26:27], s[26:27], s[34:35]
	s_delay_alu instid0(SALU_CYCLE_1) | instskip(SKIP_3) | instid1(VALU_DEP_2)
	v_mad_nc_u64_u32 v[34:35], s2, s26, v[24:25]
	s_mul_i32 s24, s3, s26
	s_mul_i32 s25, s2, s27
	v_cmp_gt_i64_e64 s50, s[26:27], -1
	v_add3_u32 v35, s25, s24, v35
	s_mul_u64 s[24:25], s[26:27], s[28:29]
	s_mov_b64 s[26:27], 0
	s_branch .LBB7_14
.LBB7_12:                               ;   in Loop: Header=BB7_14 Depth=3
	s_delay_alu instid0(VALU_DEP_1)
	v_mov_b64_e32 v[40:41], v[44:45]
.LBB7_13:                               ;   in Loop: Header=BB7_14 Depth=3
	s_add_nc_u64 s[26:27], s[26:27], 32
	v_add_nc_u64_e32 v[34:35], 0x100, v[34:35]
	v_cmp_ge_i64_e64 s51, s[26:27], s[28:29]
	v_add_nc_u64_e32 v[38:39], 0x100, v[38:39]
	s_wait_dscnt 0x0
	s_barrier_signal -1
	s_barrier_wait -1
	s_and_b32 vcc_lo, exec_lo, s51
	s_cbranch_vccnz .LBB7_10
.LBB7_14:                               ;   Parent Loop BB7_8 Depth=1
                                        ;     Parent Loop BB7_11 Depth=2
                                        ; =>    This Inner Loop Header: Depth=3
	v_add_nc_u64_e32 v[2:3], s[26:27], v[10:11]
	s_delay_alu instid0(VALU_DEP_1)
	v_cmp_gt_i64_e32 vcc_lo, s[28:29], v[2:3]
	s_and_b32 s51, s0, vcc_lo
	s_and_b32 vcc_lo, exec_lo, s48
	s_and_b32 s51, s51, s50
	s_cbranch_vccz .LBB7_18
; %bb.15:                               ;   in Loop: Header=BB7_14 Depth=3
	s_mov_b32 s53, 0
	s_mov_b32 s52, 0
                                        ; implicit-def: $vgpr0_vgpr1
	s_and_saveexec_b32 s54, s51
	s_delay_alu instid0(SALU_CYCLE_1)
	s_xor_b32 s54, exec_lo, s54
	s_cbranch_execz .LBB7_17
; %bb.16:                               ;   in Loop: Header=BB7_14 Depth=3
	v_add_nc_u64_e32 v[0:1], s[24:25], v[2:3]
	s_mov_b32 s52, exec_lo
	s_delay_alu instid0(VALU_DEP_1) | instskip(NEXT) | instid1(VALU_DEP_1)
	v_mul_u64_e32 v[0:1], s[18:19], v[0:1]
	v_lshl_add_u64 v[0:1], v[0:1], 3, v[16:17]
.LBB7_17:                               ;   in Loop: Header=BB7_14 Depth=3
	s_or_b32 exec_lo, exec_lo, s54
	s_delay_alu instid0(SALU_CYCLE_1)
	s_and_b32 vcc_lo, exec_lo, s53
	s_cbranch_vccnz .LBB7_19
	s_branch .LBB7_20
.LBB7_18:                               ;   in Loop: Header=BB7_14 Depth=3
	s_mov_b32 s52, 0
                                        ; implicit-def: $vgpr0_vgpr1
	s_cbranch_execz .LBB7_20
.LBB7_19:                               ;   in Loop: Header=BB7_14 Depth=3
	v_mov_b64_e32 v[0:1], v[34:35]
	s_and_not1_b32 s52, s52, exec_lo
	s_and_b32 s51, s51, exec_lo
	s_delay_alu instid0(SALU_CYCLE_1)
	s_or_b32 s52, s52, s51
.LBB7_20:                               ;   in Loop: Header=BB7_14 Depth=3
	v_dual_mov_b32 v42, 0 :: v_dual_mov_b32 v43, 0
	s_and_saveexec_b32 s51, s52
	s_cbranch_execz .LBB7_22
; %bb.21:                               ;   in Loop: Header=BB7_14 Depth=3
	global_load_b64 v[42:43], v[0:1], off
.LBB7_22:                               ;   in Loop: Header=BB7_14 Depth=3
	s_wait_xcnt 0x0
	s_or_b32 exec_lo, exec_lo, s51
	v_add_nc_u64_e32 v[2:3], s[26:27], v[8:9]
	s_wait_loadcnt 0x0
	ds_store_b64 v15, v[42:43]
	v_cmp_gt_i64_e32 vcc_lo, s[28:29], v[2:3]
	s_and_b32 s51, s1, vcc_lo
	s_and_b32 vcc_lo, exec_lo, s33
	s_and_b32 s51, s51, s50
	s_cbranch_vccz .LBB7_42
; %bb.23:                               ;   in Loop: Header=BB7_14 Depth=3
	s_mov_b32 s53, 0
	s_mov_b32 s52, 0
                                        ; implicit-def: $vgpr0_vgpr1
	s_and_saveexec_b32 s54, s51
	s_delay_alu instid0(SALU_CYCLE_1)
	s_xor_b32 s54, exec_lo, s54
	s_cbranch_execz .LBB7_25
; %bb.24:                               ;   in Loop: Header=BB7_14 Depth=3
	v_mul_u64_e32 v[0:1], s[28:29], v[2:3]
	s_mov_b32 s52, exec_lo
	s_delay_alu instid0(VALU_DEP_1)
	v_lshl_add_u64 v[0:1], v[0:1], 3, v[36:37]
.LBB7_25:                               ;   in Loop: Header=BB7_14 Depth=3
	s_or_b32 exec_lo, exec_lo, s54
	s_delay_alu instid0(SALU_CYCLE_1)
	s_and_b32 vcc_lo, exec_lo, s53
	s_cbranch_vccz .LBB7_27
.LBB7_26:                               ;   in Loop: Header=BB7_14 Depth=3
	v_mov_b64_e32 v[0:1], v[38:39]
	s_and_not1_b32 s52, s52, exec_lo
	s_and_b32 s51, s51, exec_lo
	s_delay_alu instid0(SALU_CYCLE_1)
	s_or_b32 s52, s52, s51
.LBB7_27:                               ;   in Loop: Header=BB7_14 Depth=3
	v_dual_mov_b32 v2, 0 :: v_dual_mov_b32 v3, 0
	s_and_saveexec_b32 s51, s52
	s_cbranch_execz .LBB7_29
; %bb.28:                               ;   in Loop: Header=BB7_14 Depth=3
	global_load_b64 v[2:3], v[0:1], off
.LBB7_29:                               ;   in Loop: Header=BB7_14 Depth=3
	s_wait_xcnt 0x0
	s_or_b32 exec_lo, exec_lo, s51
	s_delay_alu instid0(SALU_CYCLE_1)
	s_and_not1_b32 vcc_lo, exec_lo, s50
	s_wait_loadcnt 0x0
	ds_store_b64 v47, v[2:3]
	s_wait_dscnt 0x0
	s_barrier_signal -1
	s_barrier_wait -1
	s_cbranch_vccnz .LBB7_13
; %bb.30:                               ;   in Loop: Header=BB7_14 Depth=3
	s_and_b32 vcc_lo, exec_lo, s42
	s_mov_b32 s51, -1
                                        ; implicit-def: $vgpr44_vgpr45
	s_cbranch_vccz .LBB7_40
; %bb.31:                               ;   in Loop: Header=BB7_14 Depth=3
	s_and_b32 vcc_lo, exec_lo, s43
                                        ; implicit-def: $vgpr44_vgpr45
	s_cbranch_vccz .LBB7_37
; %bb.32:                               ;   in Loop: Header=BB7_14 Depth=3
	ds_load_2addr_b64 v[0:3], v14 offset1:32
	ds_load_b64 v[42:43], v14 offset:512
	s_and_not1_b32 vcc_lo, exec_lo, s44
                                        ; implicit-def: $vgpr44_vgpr45
	s_cbranch_vccnz .LBB7_34
; %bb.33:                               ;   in Loop: Header=BB7_14 Depth=3
	ds_load_b128 v[54:57], v46
	ds_load_b128 v[58:61], v46 offset:16
	ds_load_2addr_b64 v[62:65], v14 offset0:96 offset1:128
	ds_load_2addr_b64 v[66:69], v14 offset0:160 offset1:192
	s_mov_b32 s51, 0
	s_wait_dscnt 0x3
	v_pk_fma_f32 v[44:45], v[0:1], v[54:55], v[40:41] op_sel_hi:[1,0,1]
	s_delay_alu instid0(VALU_DEP_1) | instskip(SKIP_1) | instid1(VALU_DEP_2)
	v_pk_fma_f32 v[44:45], v[0:1], v[54:55], v[44:45] op_sel:[1,1,0] op_sel_hi:[0,1,1] neg_lo:[1,0,0]
	v_mov_b32_e32 v54, v57
	v_pk_fma_f32 v[44:45], v[2:3], v[56:57], v[44:45] op_sel_hi:[1,0,1]
	s_delay_alu instid0(VALU_DEP_1) | instskip(SKIP_3) | instid1(VALU_DEP_1)
	v_pk_fma_f32 v[44:45], v[2:3], v[54:55], v[44:45] op_sel:[1,0,0] op_sel_hi:[0,0,1] neg_lo:[1,0,0]
	ds_load_b128 v[54:57], v46 offset:32
	s_wait_dscnt 0x3
	v_pk_fma_f32 v[44:45], v[42:43], v[58:59], v[44:45] op_sel_hi:[1,0,1]
	v_pk_fma_f32 v[44:45], v[42:43], v[58:59], v[44:45] op_sel:[1,1,0] op_sel_hi:[0,1,1] neg_lo:[1,0,0]
	v_mov_b32_e32 v58, v61
	s_wait_dscnt 0x2
	s_delay_alu instid0(VALU_DEP_2) | instskip(NEXT) | instid1(VALU_DEP_1)
	v_pk_fma_f32 v[44:45], v[62:63], v[60:61], v[44:45] op_sel_hi:[1,0,1]
	v_pk_fma_f32 v[44:45], v[62:63], v[58:59], v[44:45] op_sel:[1,0,0] op_sel_hi:[0,0,1] neg_lo:[1,0,0]
	ds_load_b128 v[58:61], v46 offset:48
	s_wait_dscnt 0x1
	v_pk_fma_f32 v[44:45], v[64:65], v[54:55], v[44:45] op_sel_hi:[1,0,1]
	s_delay_alu instid0(VALU_DEP_1) | instskip(SKIP_3) | instid1(VALU_DEP_1)
	v_pk_fma_f32 v[44:45], v[64:65], v[54:55], v[44:45] op_sel:[1,1,0] op_sel_hi:[0,1,1] neg_lo:[1,0,0]
	ds_load_2addr_b64 v[62:65], v48 offset0:96 offset1:128
	v_mov_b32_e32 v54, v57
	v_pk_fma_f32 v[44:45], v[66:67], v[56:57], v[44:45] op_sel_hi:[1,0,1]
	v_pk_fma_f32 v[44:45], v[66:67], v[54:55], v[44:45] op_sel:[1,0,0] op_sel_hi:[0,0,1] neg_lo:[1,0,0]
	ds_load_b128 v[54:57], v46 offset:64
	s_wait_dscnt 0x2
	v_pk_fma_f32 v[44:45], v[68:69], v[58:59], v[44:45] op_sel_hi:[1,0,1]
	s_delay_alu instid0(VALU_DEP_1) | instskip(SKIP_4) | instid1(VALU_DEP_1)
	v_pk_fma_f32 v[44:45], v[68:69], v[58:59], v[44:45] op_sel:[1,1,0] op_sel_hi:[0,1,1] neg_lo:[1,0,0]
	ds_load_2addr_b64 v[66:69], v49 offset0:32 offset1:64
	v_mov_b32_e32 v58, v61
	s_wait_dscnt 0x2
	v_pk_fma_f32 v[44:45], v[62:63], v[60:61], v[44:45] op_sel_hi:[1,0,1]
	v_pk_fma_f32 v[44:45], v[62:63], v[58:59], v[44:45] op_sel:[1,0,0] op_sel_hi:[0,0,1] neg_lo:[1,0,0]
	ds_load_b128 v[58:61], v46 offset:80
	s_wait_dscnt 0x2
	v_pk_fma_f32 v[44:45], v[64:65], v[54:55], v[44:45] op_sel_hi:[1,0,1]
	s_delay_alu instid0(VALU_DEP_1) | instskip(SKIP_4) | instid1(VALU_DEP_1)
	v_pk_fma_f32 v[44:45], v[64:65], v[54:55], v[44:45] op_sel:[1,1,0] op_sel_hi:[0,1,1] neg_lo:[1,0,0]
	ds_load_2addr_b64 v[62:65], v49 offset0:96 offset1:128
	v_mov_b32_e32 v54, v57
	s_wait_dscnt 0x2
	;; [unrolled: 10-line block ×11, first 2 shown]
	v_pk_fma_f32 v[44:45], v[62:63], v[60:61], v[44:45] op_sel_hi:[1,0,1]
	v_pk_fma_f32 v[44:45], v[62:63], v[58:59], v[44:45] op_sel:[1,0,0] op_sel_hi:[0,0,1] neg_lo:[1,0,0]
	ds_load_b128 v[58:61], v46 offset:240
	s_wait_dscnt 0x2
	v_pk_fma_f32 v[44:45], v[64:65], v[54:55], v[44:45] op_sel_hi:[1,0,1]
	s_delay_alu instid0(VALU_DEP_1)
	v_pk_fma_f32 v[44:45], v[64:65], v[54:55], v[44:45] op_sel:[1,1,0] op_sel_hi:[0,1,1] neg_lo:[1,0,0]
	ds_load_b64 v[54:55], v14 offset:7936
	v_mov_b32_e32 v62, v57
	s_wait_dscnt 0x2
	v_pk_fma_f32 v[44:45], v[66:67], v[56:57], v[44:45] op_sel_hi:[1,0,1]
	s_wait_dscnt 0x1
	v_mov_b32_e32 v56, v61
	s_delay_alu instid0(VALU_DEP_2) | instskip(NEXT) | instid1(VALU_DEP_1)
	v_pk_fma_f32 v[44:45], v[66:67], v[62:63], v[44:45] op_sel:[1,0,0] op_sel_hi:[0,0,1] neg_lo:[1,0,0]
	v_pk_fma_f32 v[44:45], v[68:69], v[58:59], v[44:45] op_sel_hi:[1,0,1]
	s_delay_alu instid0(VALU_DEP_1) | instskip(SKIP_1) | instid1(VALU_DEP_1)
	v_pk_fma_f32 v[44:45], v[68:69], v[58:59], v[44:45] op_sel:[1,1,0] op_sel_hi:[0,1,1] neg_lo:[1,0,0]
	s_wait_dscnt 0x0
	v_pk_fma_f32 v[44:45], v[54:55], v[60:61], v[44:45] op_sel_hi:[1,0,1]
	s_delay_alu instid0(VALU_DEP_1)
	v_pk_fma_f32 v[44:45], v[54:55], v[56:57], v[44:45] op_sel:[1,0,0] op_sel_hi:[0,0,1] neg_lo:[1,0,0]
.LBB7_34:                               ;   in Loop: Header=BB7_14 Depth=3
	s_and_not1_b32 vcc_lo, exec_lo, s51
	s_cbranch_vccnz .LBB7_36
; %bb.35:                               ;   in Loop: Header=BB7_14 Depth=3
	ds_load_b128 v[54:57], v46
	ds_load_b128 v[58:61], v46 offset:16
	ds_load_2addr_b64 v[62:65], v14 offset0:96 offset1:128
	s_wait_dscnt 0x2
	v_pk_fma_f32 v[44:45], v[0:1], v[54:55], v[40:41] op_sel_hi:[1,0,1] neg_hi:[1,0,0]
	s_delay_alu instid0(VALU_DEP_1) | instskip(SKIP_1) | instid1(VALU_DEP_2)
	v_pk_fma_f32 v[0:1], v[0:1], v[54:55], v[44:45] op_sel:[0,1,1] op_sel_hi:[1,1,0]
	v_mov_b32_e32 v44, v57
	v_pk_fma_f32 v[0:1], v[2:3], v[56:57], v[0:1] op_sel:[1,0,0] op_sel_hi:[0,0,1] neg_lo:[1,0,0]
	s_wait_dscnt 0x1
	v_mov_b32_e32 v56, v61
	s_delay_alu instid0(VALU_DEP_2) | instskip(SKIP_2) | instid1(VALU_DEP_1)
	v_pk_fma_f32 v[44:45], v[2:3], v[44:45], v[0:1] op_sel_hi:[1,0,1]
	ds_load_b128 v[0:3], v46 offset:32
	v_pk_fma_f32 v[44:45], v[42:43], v[58:59], v[44:45] op_sel:[1,0,0] op_sel_hi:[0,0,1] neg_lo:[1,0,0]
	v_pk_fma_f32 v[54:55], v[42:43], v[58:59], v[44:45] op_sel:[0,1,0]
	ds_load_2addr_b64 v[42:45], v14 offset0:160 offset1:192
	s_wait_dscnt 0x2
	v_pk_fma_f32 v[54:55], v[62:63], v[60:61], v[54:55] op_sel:[1,0,0] op_sel_hi:[0,0,1] neg_lo:[1,0,0]
	s_delay_alu instid0(VALU_DEP_1) | instskip(SKIP_4) | instid1(VALU_DEP_1)
	v_pk_fma_f32 v[58:59], v[62:63], v[56:57], v[54:55] op_sel_hi:[1,0,1]
	ds_load_b128 v[54:57], v46 offset:48
	s_wait_dscnt 0x2
	v_mov_b32_e32 v62, v3
	v_pk_fma_f32 v[58:59], v[64:65], v[0:1], v[58:59] op_sel:[1,0,0] op_sel_hi:[0,0,1] neg_lo:[1,0,0]
	v_pk_fma_f32 v[0:1], v[64:65], v[0:1], v[58:59] op_sel:[0,1,0]
	ds_load_2addr_b64 v[58:61], v48 offset0:96 offset1:128
	s_wait_dscnt 0x2
	v_pk_fma_f32 v[0:1], v[42:43], v[2:3], v[0:1] op_sel:[1,0,0] op_sel_hi:[0,0,1] neg_lo:[1,0,0]
	s_delay_alu instid0(VALU_DEP_1) | instskip(SKIP_4) | instid1(VALU_DEP_1)
	v_pk_fma_f32 v[42:43], v[42:43], v[62:63], v[0:1] op_sel_hi:[1,0,1]
	ds_load_b128 v[0:3], v46 offset:64
	s_wait_dscnt 0x2
	v_mov_b32_e32 v62, v57
	;; [unrolled: 10-line block ×8, first 2 shown]
	v_pk_fma_f32 v[42:43], v[44:45], v[54:55], v[42:43] op_sel:[1,0,0] op_sel_hi:[0,0,1] neg_lo:[1,0,0]
	v_pk_fma_f32 v[54:55], v[44:45], v[54:55], v[42:43] op_sel:[0,1,0]
	ds_load_2addr_b64 v[42:45], v51 offset0:160 offset1:192
	s_wait_dscnt 0x2
	v_pk_fma_f32 v[54:55], v[58:59], v[56:57], v[54:55] op_sel:[1,0,0] op_sel_hi:[0,0,1] neg_lo:[1,0,0]
	s_delay_alu instid0(VALU_DEP_1) | instskip(SKIP_4) | instid1(VALU_DEP_1)
	v_pk_fma_f32 v[58:59], v[58:59], v[62:63], v[54:55] op_sel_hi:[1,0,1]
	ds_load_b128 v[54:57], v46 offset:176
	ds_load_2addr_b64 v[62:65], v52 offset0:96 offset1:128
	s_wait_dscnt 0x3
	v_pk_fma_f32 v[58:59], v[60:61], v[0:1], v[58:59] op_sel:[1,0,0] op_sel_hi:[0,0,1] neg_lo:[1,0,0]
	v_pk_fma_f32 v[0:1], v[60:61], v[0:1], v[58:59] op_sel:[0,1,0]
	v_mov_b32_e32 v58, v3
	s_wait_dscnt 0x2
	v_xor_b32_e32 v61, 0x80000000, v45
	v_mov_b32_e32 v60, v44
	v_pk_fma_f32 v[0:1], v[42:43], v[2:3], v[0:1] op_sel:[1,0,0] op_sel_hi:[0,0,1] neg_lo:[1,0,0]
	s_delay_alu instid0(VALU_DEP_1)
	v_pk_fma_f32 v[42:43], v[42:43], v[58:59], v[0:1] op_sel_hi:[1,0,1]
	ds_load_b128 v[0:3], v46 offset:192
	s_wait_dscnt 0x1
	v_xor_b32_e32 v67, 0x80000000, v63
	v_mov_b32_e32 v66, v62
	v_pk_fma_f32 v[42:43], v[60:61], v[54:55], v[42:43] op_sel:[0,0,1] op_sel_hi:[1,0,0]
	ds_load_2addr_b64 v[58:61], v53 offset0:32 offset1:64
	v_pk_fma_f32 v[42:43], v[44:45], v[54:55], v[42:43] op_sel:[1,1,0] op_sel_hi:[0,1,1]
	v_mov_b32_e32 v44, v57
	v_xor_b32_e32 v55, 0x80000000, v65
	v_mov_b32_e32 v54, v64
	s_delay_alu instid0(VALU_DEP_4) | instskip(NEXT) | instid1(VALU_DEP_1)
	v_pk_fma_f32 v[42:43], v[66:67], v[56:57], v[42:43] op_sel_hi:[1,0,1]
	v_pk_fma_f32 v[56:57], v[62:63], v[44:45], v[42:43] op_sel:[1,0,0] op_sel_hi:[0,0,1]
	ds_load_b128 v[42:45], v46 offset:208
	s_wait_dscnt 0x2
	v_pk_fma_f32 v[62:63], v[54:55], v[0:1], v[56:57] op_sel_hi:[1,0,1]
	ds_load_2addr_b64 v[54:57], v53 offset0:96 offset1:128
	s_wait_dscnt 0x2
	v_xor_b32_e32 v67, 0x80000000, v59
	v_mov_b32_e32 v66, v58
	v_pk_fma_f32 v[0:1], v[64:65], v[0:1], v[62:63] op_sel:[1,1,0] op_sel_hi:[0,1,1]
	v_mov_b32_e32 v62, v3
	v_xor_b32_e32 v65, 0x80000000, v61
	v_mov_b32_e32 v64, v60
	s_delay_alu instid0(VALU_DEP_4) | instskip(NEXT) | instid1(VALU_DEP_1)
	v_pk_fma_f32 v[0:1], v[66:67], v[2:3], v[0:1] op_sel_hi:[1,0,1]
	v_pk_fma_f32 v[58:59], v[58:59], v[62:63], v[0:1] op_sel:[1,0,0] op_sel_hi:[0,0,1]
	ds_load_b128 v[0:3], v46 offset:224
	s_wait_dscnt 0x2
	v_pk_fma_f32 v[58:59], v[64:65], v[42:43], v[58:59] op_sel_hi:[1,0,1]
	ds_load_2addr_b64 v[62:65], v53 offset0:160 offset1:192
	s_wait_dscnt 0x2
	v_xor_b32_e32 v67, 0x80000000, v55
	v_mov_b32_e32 v66, v54
	v_pk_fma_f32 v[42:43], v[60:61], v[42:43], v[58:59] op_sel:[1,1,0] op_sel_hi:[0,1,1]
	v_mov_b32_e32 v58, v45
	v_xor_b32_e32 v61, 0x80000000, v57
	s_delay_alu instid0(VALU_DEP_3) | instskip(NEXT) | instid1(VALU_DEP_1)
	v_pk_fma_f32 v[42:43], v[66:67], v[44:45], v[42:43] op_sel_hi:[1,0,1]
	v_pk_fma_f32 v[54:55], v[54:55], v[58:59], v[42:43] op_sel:[1,0,0] op_sel_hi:[0,0,1]
	ds_load_b64 v[58:59], v14 offset:7936
	v_mov_b32_e32 v60, v56
	ds_load_b128 v[42:45], v46 offset:240
	s_wait_dscnt 0x3
	v_pk_fma_f32 v[54:55], v[60:61], v[0:1], v[54:55] op_sel_hi:[1,0,1]
	s_wait_dscnt 0x2
	v_xor_b32_e32 v61, 0x80000000, v63
	v_mov_b32_e32 v60, v62
	s_delay_alu instid0(VALU_DEP_3) | instskip(SKIP_1) | instid1(VALU_DEP_2)
	v_pk_fma_f32 v[0:1], v[56:57], v[0:1], v[54:55] op_sel:[1,1,0] op_sel_hi:[0,1,1]
	v_mov_b32_e32 v54, v3
	v_pk_fma_f32 v[0:1], v[60:61], v[2:3], v[0:1] op_sel_hi:[1,0,1]
	v_xor_b32_e32 v3, 0x80000000, v65
	v_mov_b32_e32 v2, v64
	s_delay_alu instid0(VALU_DEP_3) | instskip(SKIP_1) | instid1(VALU_DEP_1)
	v_pk_fma_f32 v[0:1], v[62:63], v[54:55], v[0:1] op_sel:[1,0,0] op_sel_hi:[0,0,1]
	s_wait_dscnt 0x0
	v_pk_fma_f32 v[0:1], v[2:3], v[42:43], v[0:1] op_sel_hi:[1,0,1]
	v_xor_b32_e32 v3, 0x80000000, v59
	v_mov_b32_e32 v2, v58
	s_delay_alu instid0(VALU_DEP_3) | instskip(NEXT) | instid1(VALU_DEP_1)
	v_pk_fma_f32 v[0:1], v[64:65], v[42:43], v[0:1] op_sel:[1,1,0] op_sel_hi:[0,1,1]
	v_pk_fma_f32 v[0:1], v[2:3], v[44:45], v[0:1] op_sel_hi:[1,0,1]
	v_mov_b32_e32 v2, v45
	s_delay_alu instid0(VALU_DEP_1)
	v_pk_fma_f32 v[44:45], v[58:59], v[2:3], v[0:1] op_sel:[1,0,0] op_sel_hi:[0,0,1]
.LBB7_36:                               ;   in Loop: Header=BB7_14 Depth=3
	s_mov_b32 s51, 0
.LBB7_37:                               ;   in Loop: Header=BB7_14 Depth=3
	s_delay_alu instid0(SALU_CYCLE_1)
	s_and_not1_b32 vcc_lo, exec_lo, s51
	s_cbranch_vccnz .LBB7_39
; %bb.38:                               ;   in Loop: Header=BB7_14 Depth=3
	s_wait_dscnt 0x1
	ds_load_2addr_b64 v[0:3], v14 offset1:32
	s_wait_dscnt 0x1
	ds_load_b128 v[42:45], v46
	ds_load_b128 v[54:57], v46 offset:16
	ds_load_2addr_b64 v[58:61], v14 offset0:64 offset1:96
	s_wait_dscnt 0x2
	v_pk_fma_f32 v[62:63], v[0:1], v[42:43], v[40:41] op_sel_hi:[1,0,1]
	s_delay_alu instid0(VALU_DEP_1) | instskip(SKIP_1) | instid1(VALU_DEP_2)
	v_pk_fma_f32 v[0:1], v[0:1], v[42:43], v[62:63] op_sel:[1,1,0] op_sel_hi:[0,1,1] neg_hi:[0,1,0]
	v_mov_b32_e32 v42, v45
	v_pk_fma_f32 v[0:1], v[2:3], v[44:45], v[0:1] op_sel_hi:[1,0,1]
	s_delay_alu instid0(VALU_DEP_1) | instskip(SKIP_4) | instid1(VALU_DEP_1)
	v_pk_fma_f32 v[62:63], v[2:3], v[42:43], v[0:1] op_sel:[1,0,0] op_sel_hi:[0,0,1] neg_hi:[0,1,0]
	ds_load_b128 v[0:3], v46 offset:32
	ds_load_2addr_b64 v[42:45], v14 offset0:128 offset1:160
	s_wait_dscnt 0x2
	v_pk_fma_f32 v[62:63], v[58:59], v[54:55], v[62:63] op_sel_hi:[1,0,1]
	v_pk_fma_f32 v[54:55], v[58:59], v[54:55], v[62:63] op_sel:[1,1,0] op_sel_hi:[0,1,1] neg_hi:[0,1,0]
	v_mov_b32_e32 v58, v57
	s_delay_alu instid0(VALU_DEP_2) | instskip(NEXT) | instid1(VALU_DEP_1)
	v_pk_fma_f32 v[54:55], v[60:61], v[56:57], v[54:55] op_sel_hi:[1,0,1]
	v_pk_fma_f32 v[62:63], v[60:61], v[58:59], v[54:55] op_sel:[1,0,0] op_sel_hi:[0,0,1] neg_hi:[0,1,0]
	ds_load_b128 v[54:57], v46 offset:48
	ds_load_2addr_b64 v[58:61], v14 offset0:192 offset1:224
	s_wait_dscnt 0x2
	v_pk_fma_f32 v[62:63], v[42:43], v[0:1], v[62:63] op_sel_hi:[1,0,1]
	s_delay_alu instid0(VALU_DEP_1) | instskip(SKIP_1) | instid1(VALU_DEP_2)
	v_pk_fma_f32 v[0:1], v[42:43], v[0:1], v[62:63] op_sel:[1,1,0] op_sel_hi:[0,1,1] neg_hi:[0,1,0]
	v_mov_b32_e32 v42, v3
	v_pk_fma_f32 v[0:1], v[44:45], v[2:3], v[0:1] op_sel_hi:[1,0,1]
	s_delay_alu instid0(VALU_DEP_1) | instskip(SKIP_4) | instid1(VALU_DEP_1)
	v_pk_fma_f32 v[62:63], v[44:45], v[42:43], v[0:1] op_sel:[0,0,1] op_sel_hi:[1,0,0] neg_lo:[0,1,0]
	ds_load_b128 v[0:3], v46 offset:64
	ds_load_2addr_b64 v[42:45], v49 offset1:32
	s_wait_dscnt 0x2
	v_pk_fma_f32 v[62:63], v[58:59], v[54:55], v[62:63] op_sel:[1,0,0] op_sel_hi:[0,0,1]
	v_pk_fma_f32 v[54:55], v[58:59], v[54:55], v[62:63] op_sel:[0,1,0] neg_lo:[0,1,0]
	v_mov_b32_e32 v58, v57
	s_delay_alu instid0(VALU_DEP_2) | instskip(NEXT) | instid1(VALU_DEP_1)
	v_pk_fma_f32 v[54:55], v[60:61], v[56:57], v[54:55] op_sel:[1,0,0] op_sel_hi:[0,0,1]
	v_pk_fma_f32 v[62:63], v[60:61], v[58:59], v[54:55] op_sel_hi:[1,0,1] neg_lo:[0,1,0]
	ds_load_b128 v[54:57], v46 offset:80
	ds_load_2addr_b64 v[58:61], v49 offset0:64 offset1:96
	s_wait_dscnt 0x2
	v_pk_fma_f32 v[62:63], v[42:43], v[0:1], v[62:63] op_sel:[1,0,0] op_sel_hi:[0,0,1]
	s_delay_alu instid0(VALU_DEP_1) | instskip(SKIP_1) | instid1(VALU_DEP_2)
	v_pk_fma_f32 v[0:1], v[42:43], v[0:1], v[62:63] op_sel:[0,1,0] neg_lo:[0,1,0]
	v_mov_b32_e32 v42, v3
	v_pk_fma_f32 v[0:1], v[44:45], v[2:3], v[0:1] op_sel:[1,0,0] op_sel_hi:[0,0,1]
	s_delay_alu instid0(VALU_DEP_1) | instskip(SKIP_4) | instid1(VALU_DEP_1)
	v_pk_fma_f32 v[62:63], v[44:45], v[42:43], v[0:1] op_sel_hi:[1,0,1] neg_lo:[0,1,0]
	ds_load_b128 v[0:3], v46 offset:96
	ds_load_2addr_b64 v[42:45], v49 offset0:128 offset1:160
	s_wait_dscnt 0x2
	v_pk_fma_f32 v[62:63], v[58:59], v[54:55], v[62:63] op_sel:[1,0,0] op_sel_hi:[0,0,1]
	v_pk_fma_f32 v[54:55], v[58:59], v[54:55], v[62:63] op_sel:[0,1,0] neg_lo:[0,1,0]
	v_mov_b32_e32 v58, v57
	s_delay_alu instid0(VALU_DEP_2) | instskip(NEXT) | instid1(VALU_DEP_1)
	v_pk_fma_f32 v[54:55], v[60:61], v[56:57], v[54:55] op_sel:[0,0,1] op_sel_hi:[1,0,0]
	v_pk_fma_f32 v[62:63], v[60:61], v[58:59], v[54:55] op_sel:[1,0,0] op_sel_hi:[0,0,1] neg_hi:[0,1,0]
	ds_load_b128 v[54:57], v46 offset:112
	ds_load_2addr_b64 v[58:61], v49 offset0:192 offset1:224
	s_wait_dscnt 0x2
	v_pk_fma_f32 v[62:63], v[42:43], v[0:1], v[62:63] op_sel_hi:[1,0,1]
	s_delay_alu instid0(VALU_DEP_1) | instskip(SKIP_1) | instid1(VALU_DEP_2)
	v_pk_fma_f32 v[0:1], v[42:43], v[0:1], v[62:63] op_sel:[1,1,0] op_sel_hi:[0,1,1] neg_hi:[0,1,0]
	v_mov_b32_e32 v42, v3
	v_pk_fma_f32 v[0:1], v[44:45], v[2:3], v[0:1] op_sel_hi:[1,0,1]
	s_delay_alu instid0(VALU_DEP_1) | instskip(SKIP_4) | instid1(VALU_DEP_1)
	v_pk_fma_f32 v[62:63], v[44:45], v[42:43], v[0:1] op_sel:[1,0,0] op_sel_hi:[0,0,1] neg_hi:[0,1,0]
	ds_load_b128 v[0:3], v46 offset:128
	ds_load_2addr_b64 v[42:45], v51 offset1:32
	s_wait_dscnt 0x2
	v_pk_fma_f32 v[62:63], v[58:59], v[54:55], v[62:63] op_sel_hi:[1,0,1]
	v_pk_fma_f32 v[54:55], v[58:59], v[54:55], v[62:63] op_sel:[1,1,0] op_sel_hi:[0,1,1] neg_hi:[0,1,0]
	v_mov_b32_e32 v58, v57
	s_delay_alu instid0(VALU_DEP_2) | instskip(NEXT) | instid1(VALU_DEP_1)
	v_pk_fma_f32 v[54:55], v[60:61], v[56:57], v[54:55] op_sel_hi:[1,0,1]
	v_pk_fma_f32 v[62:63], v[60:61], v[58:59], v[54:55] op_sel:[1,0,0] op_sel_hi:[0,0,1] neg_hi:[0,1,0]
	ds_load_b128 v[54:57], v46 offset:144
	ds_load_2addr_b64 v[58:61], v51 offset0:64 offset1:96
	s_wait_dscnt 0x2
	v_pk_fma_f32 v[62:63], v[42:43], v[0:1], v[62:63] op_sel_hi:[1,0,1]
	s_delay_alu instid0(VALU_DEP_1) | instskip(SKIP_1) | instid1(VALU_DEP_2)
	v_pk_fma_f32 v[0:1], v[42:43], v[0:1], v[62:63] op_sel:[0,1,1] op_sel_hi:[1,1,0] neg_lo:[0,1,0]
	v_mov_b32_e32 v42, v3
	v_pk_fma_f32 v[0:1], v[44:45], v[2:3], v[0:1] op_sel:[1,0,0] op_sel_hi:[0,0,1]
	s_delay_alu instid0(VALU_DEP_1) | instskip(SKIP_4) | instid1(VALU_DEP_1)
	v_pk_fma_f32 v[62:63], v[44:45], v[42:43], v[0:1] op_sel_hi:[1,0,1] neg_lo:[0,1,0]
	ds_load_b128 v[0:3], v46 offset:160
	ds_load_2addr_b64 v[42:45], v51 offset0:128 offset1:160
	s_wait_dscnt 0x2
	v_pk_fma_f32 v[62:63], v[58:59], v[54:55], v[62:63] op_sel:[1,0,0] op_sel_hi:[0,0,1]
	v_pk_fma_f32 v[54:55], v[58:59], v[54:55], v[62:63] op_sel:[0,1,0] neg_lo:[0,1,0]
	v_mov_b32_e32 v58, v57
	s_delay_alu instid0(VALU_DEP_2) | instskip(NEXT) | instid1(VALU_DEP_1)
	v_pk_fma_f32 v[54:55], v[60:61], v[56:57], v[54:55] op_sel:[1,0,0] op_sel_hi:[0,0,1]
	v_pk_fma_f32 v[62:63], v[60:61], v[58:59], v[54:55] op_sel_hi:[1,0,1] neg_lo:[0,1,0]
	ds_load_b128 v[54:57], v46 offset:176
	ds_load_2addr_b64 v[58:61], v51 offset0:192 offset1:224
	s_wait_dscnt 0x2
	v_pk_fma_f32 v[62:63], v[42:43], v[0:1], v[62:63] op_sel:[1,0,0] op_sel_hi:[0,0,1]
	s_delay_alu instid0(VALU_DEP_1) | instskip(SKIP_1) | instid1(VALU_DEP_2)
	v_pk_fma_f32 v[0:1], v[42:43], v[0:1], v[62:63] op_sel:[0,1,0] neg_lo:[0,1,0]
	v_mov_b32_e32 v42, v3
	v_pk_fma_f32 v[0:1], v[44:45], v[2:3], v[0:1] op_sel:[1,0,0] op_sel_hi:[0,0,1]
	s_delay_alu instid0(VALU_DEP_1) | instskip(SKIP_4) | instid1(VALU_DEP_1)
	v_pk_fma_f32 v[62:63], v[44:45], v[42:43], v[0:1] op_sel_hi:[1,0,1] neg_lo:[0,1,0]
	ds_load_b128 v[0:3], v46 offset:192
	ds_load_2addr_b64 v[42:45], v53 offset1:32
	s_wait_dscnt 0x2
	v_pk_fma_f32 v[62:63], v[58:59], v[54:55], v[62:63] op_sel:[0,0,1] op_sel_hi:[1,0,0]
	v_pk_fma_f32 v[54:55], v[58:59], v[54:55], v[62:63] op_sel:[1,1,0] op_sel_hi:[0,1,1] neg_hi:[0,1,0]
	v_mov_b32_e32 v58, v57
	s_delay_alu instid0(VALU_DEP_2) | instskip(NEXT) | instid1(VALU_DEP_1)
	v_pk_fma_f32 v[54:55], v[60:61], v[56:57], v[54:55] op_sel_hi:[1,0,1]
	v_pk_fma_f32 v[62:63], v[60:61], v[58:59], v[54:55] op_sel:[1,0,0] op_sel_hi:[0,0,1] neg_hi:[0,1,0]
	ds_load_b128 v[54:57], v46 offset:208
	ds_load_2addr_b64 v[58:61], v53 offset0:64 offset1:96
	s_wait_dscnt 0x2
	v_pk_fma_f32 v[62:63], v[42:43], v[0:1], v[62:63] op_sel_hi:[1,0,1]
	s_delay_alu instid0(VALU_DEP_1) | instskip(SKIP_1) | instid1(VALU_DEP_2)
	v_pk_fma_f32 v[0:1], v[42:43], v[0:1], v[62:63] op_sel:[1,1,0] op_sel_hi:[0,1,1] neg_hi:[0,1,0]
	v_mov_b32_e32 v42, v3
	v_pk_fma_f32 v[0:1], v[44:45], v[2:3], v[0:1] op_sel_hi:[1,0,1]
	s_delay_alu instid0(VALU_DEP_1) | instskip(SKIP_4) | instid1(VALU_DEP_1)
	v_pk_fma_f32 v[62:63], v[44:45], v[42:43], v[0:1] op_sel:[1,0,0] op_sel_hi:[0,0,1] neg_hi:[0,1,0]
	ds_load_b128 v[0:3], v46 offset:224
	ds_load_2addr_b64 v[42:45], v53 offset0:128 offset1:160
	s_wait_dscnt 0x2
	v_pk_fma_f32 v[62:63], v[58:59], v[54:55], v[62:63] op_sel_hi:[1,0,1]
	v_pk_fma_f32 v[54:55], v[58:59], v[54:55], v[62:63] op_sel:[1,1,0] op_sel_hi:[0,1,1] neg_hi:[0,1,0]
	v_mov_b32_e32 v58, v57
	s_delay_alu instid0(VALU_DEP_2) | instskip(NEXT) | instid1(VALU_DEP_1)
	v_pk_fma_f32 v[54:55], v[60:61], v[56:57], v[54:55] op_sel_hi:[1,0,1]
	v_pk_fma_f32 v[62:63], v[60:61], v[58:59], v[54:55] op_sel:[1,0,0] op_sel_hi:[0,0,1] neg_hi:[0,1,0]
	ds_load_b128 v[54:57], v46 offset:240
	ds_load_2addr_b64 v[58:61], v53 offset0:192 offset1:224
	s_wait_dscnt 0x2
	v_pk_fma_f32 v[62:63], v[42:43], v[0:1], v[62:63] op_sel_hi:[1,0,1]
	s_delay_alu instid0(VALU_DEP_1) | instskip(SKIP_1) | instid1(VALU_DEP_2)
	v_pk_fma_f32 v[0:1], v[42:43], v[0:1], v[62:63] op_sel:[1,1,0] op_sel_hi:[0,1,1] neg_hi:[0,1,0]
	v_mov_b32_e32 v42, v3
	v_pk_fma_f32 v[0:1], v[44:45], v[2:3], v[0:1] op_sel_hi:[1,0,1]
	s_wait_dscnt 0x1
	v_mov_b32_e32 v2, v57
	s_delay_alu instid0(VALU_DEP_2) | instskip(SKIP_1) | instid1(VALU_DEP_1)
	v_pk_fma_f32 v[0:1], v[44:45], v[42:43], v[0:1] op_sel:[1,0,0] op_sel_hi:[0,0,1] neg_hi:[0,1,0]
	s_wait_dscnt 0x0
	v_pk_fma_f32 v[0:1], v[58:59], v[54:55], v[0:1] op_sel_hi:[1,0,1]
	s_delay_alu instid0(VALU_DEP_1) | instskip(NEXT) | instid1(VALU_DEP_1)
	v_pk_fma_f32 v[0:1], v[58:59], v[54:55], v[0:1] op_sel:[1,1,0] op_sel_hi:[0,1,1] neg_hi:[0,1,0]
	v_pk_fma_f32 v[0:1], v[60:61], v[56:57], v[0:1] op_sel_hi:[1,0,1]
	s_delay_alu instid0(VALU_DEP_1)
	v_pk_fma_f32 v[44:45], v[60:61], v[2:3], v[0:1] op_sel:[1,0,0] op_sel_hi:[0,0,1] neg_hi:[0,1,0]
.LBB7_39:                               ;   in Loop: Header=BB7_14 Depth=3
	s_mov_b32 s51, 0
.LBB7_40:                               ;   in Loop: Header=BB7_14 Depth=3
	s_delay_alu instid0(SALU_CYCLE_1)
	s_and_not1_b32 vcc_lo, exec_lo, s51
	s_cbranch_vccnz .LBB7_12
; %bb.41:                               ;   in Loop: Header=BB7_14 Depth=3
	s_wait_dscnt 0x1
	ds_load_2addr_b64 v[0:3], v14 offset1:32
	s_wait_dscnt 0x1
	ds_load_b128 v[42:45], v46
	ds_load_b128 v[54:57], v46 offset:16
	ds_load_2addr_b64 v[58:61], v14 offset0:64 offset1:96
	s_wait_dscnt 0x2
	v_pk_fma_f32 v[40:41], v[0:1], v[42:43], v[40:41] op_sel_hi:[1,0,1] neg_hi:[1,0,0]
	s_delay_alu instid0(VALU_DEP_1) | instskip(SKIP_1) | instid1(VALU_DEP_2)
	v_pk_fma_f32 v[0:1], v[0:1], v[42:43], v[40:41] op_sel:[0,1,1] op_sel_hi:[1,1,0] neg_lo:[0,1,0] neg_hi:[0,1,0]
	v_mov_b32_e32 v40, v45
	v_pk_fma_f32 v[0:1], v[2:3], v[44:45], v[0:1] op_sel:[1,0,0] op_sel_hi:[0,0,1] neg_lo:[1,0,0]
	s_delay_alu instid0(VALU_DEP_1) | instskip(SKIP_4) | instid1(VALU_DEP_1)
	v_pk_fma_f32 v[44:45], v[2:3], v[40:41], v[0:1] op_sel_hi:[1,0,1] neg_lo:[0,1,0] neg_hi:[0,1,0]
	ds_load_b128 v[0:3], v46 offset:32
	ds_load_2addr_b64 v[40:43], v14 offset0:128 offset1:160
	s_wait_dscnt 0x2
	v_pk_fma_f32 v[44:45], v[58:59], v[54:55], v[44:45] op_sel:[1,0,0] op_sel_hi:[0,0,1] neg_lo:[1,0,0]
	v_pk_fma_f32 v[44:45], v[58:59], v[54:55], v[44:45] op_sel:[0,1,0] neg_lo:[0,1,0] neg_hi:[0,1,0]
	v_mov_b32_e32 v54, v57
	s_delay_alu instid0(VALU_DEP_2) | instskip(NEXT) | instid1(VALU_DEP_1)
	v_pk_fma_f32 v[44:45], v[60:61], v[56:57], v[44:45] op_sel:[1,0,0] op_sel_hi:[0,0,1] neg_lo:[1,0,0]
	v_pk_fma_f32 v[44:45], v[60:61], v[54:55], v[44:45] op_sel_hi:[1,0,1] neg_lo:[0,1,0] neg_hi:[0,1,0]
	ds_load_b128 v[54:57], v46 offset:48
	ds_load_2addr_b64 v[58:61], v14 offset0:192 offset1:224
	s_wait_dscnt 0x2
	v_pk_fma_f32 v[44:45], v[40:41], v[0:1], v[44:45] op_sel:[1,0,0] op_sel_hi:[0,0,1] neg_lo:[1,0,0]
	s_delay_alu instid0(VALU_DEP_1) | instskip(SKIP_1) | instid1(VALU_DEP_2)
	v_pk_fma_f32 v[0:1], v[40:41], v[0:1], v[44:45] op_sel:[0,1,0] neg_lo:[0,1,0] neg_hi:[0,1,0]
	v_mov_b32_e32 v40, v3
	v_pk_fma_f32 v[0:1], v[42:43], v[2:3], v[0:1] op_sel:[1,0,0] op_sel_hi:[0,0,1] neg_lo:[1,0,0]
	s_delay_alu instid0(VALU_DEP_1) | instskip(SKIP_4) | instid1(VALU_DEP_1)
	v_pk_fma_f32 v[44:45], v[42:43], v[40:41], v[0:1] op_sel_hi:[1,0,1] neg_lo:[0,1,0] neg_hi:[0,1,0]
	ds_load_b128 v[0:3], v46 offset:64
	ds_load_2addr_b64 v[40:43], v49 offset1:32
	s_wait_dscnt 0x2
	v_pk_fma_f32 v[44:45], v[58:59], v[54:55], v[44:45] op_sel:[1,0,0] op_sel_hi:[0,0,1] neg_lo:[1,0,0]
	v_pk_fma_f32 v[44:45], v[58:59], v[54:55], v[44:45] op_sel:[0,1,0] neg_lo:[0,1,0] neg_hi:[0,1,0]
	v_mov_b32_e32 v54, v57
	s_delay_alu instid0(VALU_DEP_2) | instskip(NEXT) | instid1(VALU_DEP_1)
	v_pk_fma_f32 v[44:45], v[60:61], v[56:57], v[44:45] op_sel:[1,0,0] op_sel_hi:[0,0,1] neg_lo:[1,0,0]
	v_pk_fma_f32 v[44:45], v[60:61], v[54:55], v[44:45] op_sel_hi:[1,0,1] neg_lo:[0,1,0] neg_hi:[0,1,0]
	ds_load_b128 v[54:57], v46 offset:80
	ds_load_2addr_b64 v[58:61], v49 offset0:64 offset1:96
	s_wait_dscnt 0x2
	v_pk_fma_f32 v[44:45], v[40:41], v[0:1], v[44:45] op_sel:[1,0,0] op_sel_hi:[0,0,1] neg_lo:[1,0,0]
	s_delay_alu instid0(VALU_DEP_1) | instskip(SKIP_1) | instid1(VALU_DEP_2)
	v_pk_fma_f32 v[0:1], v[40:41], v[0:1], v[44:45] op_sel:[0,1,0] neg_lo:[0,1,0] neg_hi:[0,1,0]
	v_mov_b32_e32 v40, v3
	v_pk_fma_f32 v[0:1], v[42:43], v[2:3], v[0:1] op_sel:[1,0,0] op_sel_hi:[0,0,1] neg_lo:[1,0,0]
	s_delay_alu instid0(VALU_DEP_1) | instskip(SKIP_4) | instid1(VALU_DEP_1)
	v_pk_fma_f32 v[44:45], v[42:43], v[40:41], v[0:1] op_sel_hi:[1,0,1] neg_lo:[0,1,0] neg_hi:[0,1,0]
	ds_load_b128 v[0:3], v46 offset:96
	ds_load_2addr_b64 v[40:43], v49 offset0:128 offset1:160
	s_wait_dscnt 0x2
	v_pk_fma_f32 v[44:45], v[58:59], v[54:55], v[44:45] op_sel:[1,0,0] op_sel_hi:[0,0,1] neg_lo:[1,0,0]
	v_pk_fma_f32 v[44:45], v[58:59], v[54:55], v[44:45] op_sel:[0,1,0] neg_lo:[0,1,0] neg_hi:[0,1,0]
	v_mov_b32_e32 v54, v57
	s_delay_alu instid0(VALU_DEP_2) | instskip(NEXT) | instid1(VALU_DEP_1)
	v_pk_fma_f32 v[44:45], v[60:61], v[56:57], v[44:45] op_sel:[1,0,0] op_sel_hi:[0,0,1] neg_lo:[1,0,0]
	v_pk_fma_f32 v[44:45], v[60:61], v[54:55], v[44:45] op_sel_hi:[1,0,1] neg_lo:[0,1,0] neg_hi:[0,1,0]
	ds_load_b128 v[54:57], v46 offset:112
	ds_load_2addr_b64 v[58:61], v49 offset0:192 offset1:224
	s_wait_dscnt 0x2
	v_pk_fma_f32 v[44:45], v[40:41], v[0:1], v[44:45] op_sel:[1,0,0] op_sel_hi:[0,0,1] neg_lo:[1,0,0]
	s_delay_alu instid0(VALU_DEP_1) | instskip(SKIP_1) | instid1(VALU_DEP_2)
	v_pk_fma_f32 v[0:1], v[40:41], v[0:1], v[44:45] op_sel:[0,1,0] neg_lo:[0,1,0] neg_hi:[0,1,0]
	v_mov_b32_e32 v40, v3
	v_pk_fma_f32 v[0:1], v[42:43], v[2:3], v[0:1] op_sel:[1,0,0] op_sel_hi:[0,0,1] neg_lo:[1,0,0]
	s_delay_alu instid0(VALU_DEP_1) | instskip(SKIP_4) | instid1(VALU_DEP_1)
	v_pk_fma_f32 v[44:45], v[42:43], v[40:41], v[0:1] op_sel_hi:[1,0,1] neg_lo:[0,1,0] neg_hi:[0,1,0]
	ds_load_b128 v[0:3], v46 offset:128
	ds_load_2addr_b64 v[40:43], v51 offset1:32
	s_wait_dscnt 0x2
	v_pk_fma_f32 v[44:45], v[58:59], v[54:55], v[44:45] op_sel:[1,0,0] op_sel_hi:[0,0,1] neg_lo:[1,0,0]
	v_pk_fma_f32 v[44:45], v[58:59], v[54:55], v[44:45] op_sel:[0,1,0] neg_lo:[0,1,0] neg_hi:[0,1,0]
	v_mov_b32_e32 v54, v57
	s_delay_alu instid0(VALU_DEP_2) | instskip(NEXT) | instid1(VALU_DEP_1)
	v_pk_fma_f32 v[44:45], v[60:61], v[56:57], v[44:45] op_sel:[1,0,0] op_sel_hi:[0,0,1] neg_lo:[1,0,0]
	v_pk_fma_f32 v[44:45], v[60:61], v[54:55], v[44:45] op_sel_hi:[1,0,1] neg_lo:[0,1,0] neg_hi:[0,1,0]
	ds_load_b128 v[54:57], v46 offset:144
	ds_load_2addr_b64 v[58:61], v51 offset0:64 offset1:96
	s_wait_dscnt 0x2
	v_pk_fma_f32 v[44:45], v[40:41], v[0:1], v[44:45] op_sel:[1,0,0] op_sel_hi:[0,0,1] neg_lo:[1,0,0]
	s_delay_alu instid0(VALU_DEP_1) | instskip(SKIP_1) | instid1(VALU_DEP_2)
	v_pk_fma_f32 v[0:1], v[40:41], v[0:1], v[44:45] op_sel:[0,1,0] neg_lo:[0,1,0] neg_hi:[0,1,0]
	v_mov_b32_e32 v40, v3
	v_pk_fma_f32 v[0:1], v[42:43], v[2:3], v[0:1] op_sel:[1,0,0] op_sel_hi:[0,0,1] neg_lo:[1,0,0]
	s_delay_alu instid0(VALU_DEP_1) | instskip(SKIP_4) | instid1(VALU_DEP_1)
	v_pk_fma_f32 v[44:45], v[42:43], v[40:41], v[0:1] op_sel_hi:[1,0,1] neg_lo:[0,1,0] neg_hi:[0,1,0]
	ds_load_b128 v[0:3], v46 offset:160
	ds_load_2addr_b64 v[40:43], v51 offset0:128 offset1:160
	s_wait_dscnt 0x2
	v_pk_fma_f32 v[44:45], v[58:59], v[54:55], v[44:45] op_sel:[1,0,0] op_sel_hi:[0,0,1] neg_lo:[1,0,0]
	v_pk_fma_f32 v[44:45], v[58:59], v[54:55], v[44:45] op_sel:[0,1,0] neg_lo:[0,1,0] neg_hi:[0,1,0]
	v_mov_b32_e32 v58, v57
	s_delay_alu instid0(VALU_DEP_2)
	v_pk_fma_f32 v[44:45], v[60:61], v[56:57], v[44:45] op_sel:[1,0,0] op_sel_hi:[0,0,1] neg_lo:[1,0,0]
	ds_load_2addr_b64 v[54:57], v51 offset0:192 offset1:224
	v_pk_fma_f32 v[44:45], v[60:61], v[58:59], v[44:45] op_sel_hi:[1,0,1] neg_lo:[0,1,0] neg_hi:[0,1,0]
	ds_load_b128 v[58:61], v46 offset:176
	s_wait_dscnt 0x2
	v_pk_fma_f32 v[44:45], v[40:41], v[0:1], v[44:45] op_sel:[1,0,0] op_sel_hi:[0,0,1] neg_lo:[1,0,0]
	s_delay_alu instid0(VALU_DEP_1) | instskip(SKIP_1) | instid1(VALU_DEP_2)
	v_pk_fma_f32 v[0:1], v[40:41], v[0:1], v[44:45] op_sel:[0,1,0] neg_lo:[0,1,0] neg_hi:[0,1,0]
	v_mov_b32_e32 v40, v3
	v_pk_fma_f32 v[44:45], v[42:43], v[2:3], v[0:1] op_sel:[1,0,0] op_sel_hi:[0,0,1] neg_lo:[1,0,0]
	ds_load_2addr_b64 v[0:3], v53 offset1:32
	s_wait_dscnt 0x2
	v_xor_b32_e32 v63, 0x80000000, v55
	v_mov_b32_e32 v62, v54
	v_pk_fma_f32 v[44:45], v[42:43], v[40:41], v[44:45] op_sel_hi:[1,0,1] neg_lo:[0,1,0] neg_hi:[0,1,0]
	ds_load_b128 v[40:43], v46 offset:192
	s_wait_dscnt 0x2
	v_pk_fma_f32 v[44:45], v[62:63], v[58:59], v[44:45] op_sel:[0,0,1] op_sel_hi:[1,0,0]
	v_xor_b32_e32 v63, 0x80000000, v57
	v_mov_b32_e32 v62, v56
	s_delay_alu instid0(VALU_DEP_3) | instskip(SKIP_1) | instid1(VALU_DEP_2)
	v_pk_fma_f32 v[44:45], v[54:55], v[58:59], v[44:45] op_sel:[1,1,0] op_sel_hi:[0,1,1] neg_lo:[0,1,0] neg_hi:[0,1,0]
	v_mov_b32_e32 v54, v61
	v_pk_fma_f32 v[44:45], v[62:63], v[60:61], v[44:45] op_sel_hi:[1,0,1]
	ds_load_2addr_b64 v[58:61], v53 offset0:64 offset1:96
	s_wait_dscnt 0x2
	v_xor_b32_e32 v63, 0x80000000, v1
	v_mov_b32_e32 v62, v0
	v_pk_fma_f32 v[44:45], v[56:57], v[54:55], v[44:45] op_sel:[1,0,0] op_sel_hi:[0,0,1] neg_lo:[0,1,0] neg_hi:[0,1,0]
	ds_load_b128 v[54:57], v46 offset:208
	s_wait_dscnt 0x2
	v_pk_fma_f32 v[44:45], v[62:63], v[40:41], v[44:45] op_sel_hi:[1,0,1]
	v_xor_b32_e32 v63, 0x80000000, v3
	v_mov_b32_e32 v62, v2
	s_delay_alu instid0(VALU_DEP_3) | instskip(SKIP_1) | instid1(VALU_DEP_2)
	v_pk_fma_f32 v[0:1], v[0:1], v[40:41], v[44:45] op_sel:[1,1,0] op_sel_hi:[0,1,1] neg_lo:[0,1,0] neg_hi:[0,1,0]
	v_mov_b32_e32 v44, v43
	v_pk_fma_f32 v[0:1], v[62:63], v[42:43], v[0:1] op_sel_hi:[1,0,1]
	ds_load_2addr_b64 v[40:43], v53 offset0:128 offset1:160
	s_wait_dscnt 0x2
	v_xor_b32_e32 v63, 0x80000000, v59
	v_pk_fma_f32 v[44:45], v[2:3], v[44:45], v[0:1] op_sel:[1,0,0] op_sel_hi:[0,0,1] neg_lo:[0,1,0] neg_hi:[0,1,0]
	ds_load_b128 v[0:3], v46 offset:224
	v_mov_b32_e32 v62, v58
	s_wait_dscnt 0x2
	s_delay_alu instid0(VALU_DEP_1) | instskip(SKIP_2) | instid1(VALU_DEP_3)
	v_pk_fma_f32 v[44:45], v[62:63], v[54:55], v[44:45] op_sel_hi:[1,0,1]
	v_xor_b32_e32 v63, 0x80000000, v61
	v_mov_b32_e32 v62, v60
	v_pk_fma_f32 v[44:45], v[58:59], v[54:55], v[44:45] op_sel:[1,1,0] op_sel_hi:[0,1,1] neg_lo:[0,1,0] neg_hi:[0,1,0]
	v_mov_b32_e32 v58, v57
	s_delay_alu instid0(VALU_DEP_2)
	v_pk_fma_f32 v[44:45], v[62:63], v[56:57], v[44:45] op_sel_hi:[1,0,1]
	ds_load_2addr_b64 v[54:57], v53 offset0:192 offset1:224
	s_wait_dscnt 0x2
	v_xor_b32_e32 v63, 0x80000000, v41
	v_mov_b32_e32 v62, v40
	v_pk_fma_f32 v[44:45], v[60:61], v[58:59], v[44:45] op_sel:[1,0,0] op_sel_hi:[0,0,1] neg_lo:[0,1,0] neg_hi:[0,1,0]
	ds_load_b128 v[58:61], v46 offset:240
	s_wait_dscnt 0x2
	v_pk_fma_f32 v[44:45], v[62:63], v[0:1], v[44:45] op_sel_hi:[1,0,1]
	v_xor_b32_e32 v63, 0x80000000, v43
	v_mov_b32_e32 v62, v42
	s_delay_alu instid0(VALU_DEP_3) | instskip(SKIP_1) | instid1(VALU_DEP_2)
	v_pk_fma_f32 v[0:1], v[40:41], v[0:1], v[44:45] op_sel:[1,1,0] op_sel_hi:[0,1,1] neg_lo:[0,1,0] neg_hi:[0,1,0]
	v_mov_b32_e32 v40, v3
	v_pk_fma_f32 v[0:1], v[62:63], v[2:3], v[0:1] op_sel_hi:[1,0,1]
	s_wait_dscnt 0x1
	v_xor_b32_e32 v3, 0x80000000, v55
	v_mov_b32_e32 v2, v54
	s_delay_alu instid0(VALU_DEP_3) | instskip(SKIP_1) | instid1(VALU_DEP_1)
	v_pk_fma_f32 v[0:1], v[42:43], v[40:41], v[0:1] op_sel:[1,0,0] op_sel_hi:[0,0,1] neg_lo:[0,1,0] neg_hi:[0,1,0]
	s_wait_dscnt 0x0
	v_pk_fma_f32 v[0:1], v[2:3], v[58:59], v[0:1] op_sel_hi:[1,0,1]
	v_xor_b32_e32 v3, 0x80000000, v57
	v_mov_b32_e32 v2, v56
	s_delay_alu instid0(VALU_DEP_3) | instskip(NEXT) | instid1(VALU_DEP_1)
	v_pk_fma_f32 v[0:1], v[54:55], v[58:59], v[0:1] op_sel:[1,1,0] op_sel_hi:[0,1,1] neg_lo:[0,1,0] neg_hi:[0,1,0]
	v_pk_fma_f32 v[0:1], v[2:3], v[60:61], v[0:1] op_sel_hi:[1,0,1]
	v_mov_b32_e32 v2, v61
	s_delay_alu instid0(VALU_DEP_1)
	v_pk_fma_f32 v[44:45], v[56:57], v[2:3], v[0:1] op_sel:[1,0,0] op_sel_hi:[0,0,1] neg_lo:[0,1,0] neg_hi:[0,1,0]
	s_branch .LBB7_12
.LBB7_42:                               ;   in Loop: Header=BB7_14 Depth=3
	s_mov_b32 s52, 0
                                        ; implicit-def: $vgpr0_vgpr1
	s_cbranch_execnz .LBB7_26
	s_branch .LBB7_27
.LBB7_43:                               ;   in Loop: Header=BB7_8 Depth=1
	v_add_nc_u64_e32 v[2:3], s[36:37], v[28:29]
	s_and_b32 vcc_lo, exec_lo, s45
	s_mov_b32 s1, -1
                                        ; implicit-def: $vgpr0_vgpr1
	s_cbranch_vccnz .LBB7_46
; %bb.44:                               ;   in Loop: Header=BB7_8 Depth=1
	s_and_not1_b32 vcc_lo, exec_lo, s1
	s_cbranch_vccz .LBB7_47
.LBB7_45:                               ;   in Loop: Header=BB7_8 Depth=1
	v_cmp_gt_i64_e32 vcc_lo, s[28:29], v[28:29]
	s_and_b32 s20, s46, vcc_lo
	s_delay_alu instid0(SALU_CYCLE_1)
	s_and_saveexec_b32 s1, s20
	s_cbranch_execz .LBB7_7
	s_branch .LBB7_48
.LBB7_46:                               ;   in Loop: Header=BB7_8 Depth=1
	s_delay_alu instid0(VALU_DEP_1) | instskip(NEXT) | instid1(VALU_DEP_1)
	v_mad_nc_u64_u32 v[0:1], v2, s6, v[12:13]
	v_mad_u32 v1, v3, s6, v1
	s_delay_alu instid0(VALU_DEP_1)
	v_mad_u32 v1, v2, s7, v1
	s_cbranch_execnz .LBB7_45
.LBB7_47:                               ;   in Loop: Header=BB7_8 Depth=1
	s_delay_alu instid0(VALU_DEP_1) | instskip(SKIP_2) | instid1(SALU_CYCLE_1)
	v_add_nc_u64_e32 v[0:1], v[2:3], v[18:19]
	v_cmp_gt_i64_e32 vcc_lo, s[28:29], v[28:29]
	s_and_b32 s20, s46, vcc_lo
	s_and_saveexec_b32 s1, s20
	s_cbranch_execz .LBB7_7
.LBB7_48:                               ;   in Loop: Header=BB7_8 Depth=1
	v_pk_mul_f32 v[2:3], v[40:41], v[20:21] op_sel:[1,0]
	s_delay_alu instid0(VALU_DEP_3) | instskip(NEXT) | instid1(VALU_DEP_2)
	v_lshl_add_u64 v[0:1], v[0:1], 3, s[4:5]
	v_pk_fma_f32 v[2:3], v[4:5], v[40:41], v[2:3] op_sel_hi:[1,0,1]
	s_and_saveexec_b32 s20, s47
	s_delay_alu instid0(SALU_CYCLE_1)
	s_xor_b32 s20, exec_lo, s20
	s_cbranch_execz .LBB7_50
; %bb.49:                               ;   in Loop: Header=BB7_8 Depth=1
	global_load_b64 v[28:29], v[0:1], off
	s_wait_loadcnt 0x0
	v_pk_fma_f32 v[2:3], v[6:7], v[28:29], v[2:3] op_sel_hi:[1,0,1]
	s_delay_alu instid0(VALU_DEP_1)
	v_pk_fma_f32 v[2:3], v[22:23], v[28:29], v[2:3] op_sel:[0,1,0]
	global_store_b64 v[0:1], v[2:3], off
                                        ; implicit-def: $vgpr0_vgpr1
                                        ; implicit-def: $vgpr2_vgpr3
.LBB7_50:                               ;   in Loop: Header=BB7_8 Depth=1
	s_wait_xcnt 0x0
	s_and_not1_saveexec_b32 s20, s20
	s_cbranch_execz .LBB7_7
; %bb.51:                               ;   in Loop: Header=BB7_8 Depth=1
	global_store_b64 v[0:1], v[2:3], off
	s_branch .LBB7_7
.LBB7_52:
	s_sendmsg sendmsg(MSG_DEALLOC_VGPRS)
	s_endpgm
.LBB7_53:
                                        ; implicit-def: $sgpr30_sgpr31
	s_branch .LBB7_4
	.section	.rodata,"a",@progbits
	.p2align	6, 0x0
	.amdhsa_kernel _ZN9rocsparseL30bellmm_general_blockdim_kernelILi32ELi32E21rocsparse_complex_numIfElS2_S2_S2_EEv20rocsparse_operation_S3_20rocsparse_direction_T2_S5_NS_24const_host_device_scalarIT1_EES5_S5_PKS5_PKT3_PKT4_l16rocsparse_order_S8_PT5_lSH_21rocsparse_index_base_b
		.amdhsa_group_segment_fixed_size 16384
		.amdhsa_private_segment_fixed_size 0
		.amdhsa_kernarg_size 132
		.amdhsa_user_sgpr_count 2
		.amdhsa_user_sgpr_dispatch_ptr 0
		.amdhsa_user_sgpr_queue_ptr 0
		.amdhsa_user_sgpr_kernarg_segment_ptr 1
		.amdhsa_user_sgpr_dispatch_id 0
		.amdhsa_user_sgpr_kernarg_preload_length 0
		.amdhsa_user_sgpr_kernarg_preload_offset 0
		.amdhsa_user_sgpr_private_segment_size 0
		.amdhsa_wavefront_size32 1
		.amdhsa_uses_dynamic_stack 0
		.amdhsa_enable_private_segment 0
		.amdhsa_system_sgpr_workgroup_id_x 1
		.amdhsa_system_sgpr_workgroup_id_y 1
		.amdhsa_system_sgpr_workgroup_id_z 0
		.amdhsa_system_sgpr_workgroup_info 0
		.amdhsa_system_vgpr_workitem_id 1
		.amdhsa_next_free_vgpr 70
		.amdhsa_next_free_sgpr 55
		.amdhsa_named_barrier_count 0
		.amdhsa_reserve_vcc 1
		.amdhsa_float_round_mode_32 0
		.amdhsa_float_round_mode_16_64 0
		.amdhsa_float_denorm_mode_32 3
		.amdhsa_float_denorm_mode_16_64 3
		.amdhsa_fp16_overflow 0
		.amdhsa_memory_ordered 1
		.amdhsa_forward_progress 1
		.amdhsa_inst_pref_size 53
		.amdhsa_round_robin_scheduling 0
		.amdhsa_exception_fp_ieee_invalid_op 0
		.amdhsa_exception_fp_denorm_src 0
		.amdhsa_exception_fp_ieee_div_zero 0
		.amdhsa_exception_fp_ieee_overflow 0
		.amdhsa_exception_fp_ieee_underflow 0
		.amdhsa_exception_fp_ieee_inexact 0
		.amdhsa_exception_int_div_zero 0
	.end_amdhsa_kernel
	.section	.text._ZN9rocsparseL30bellmm_general_blockdim_kernelILi32ELi32E21rocsparse_complex_numIfElS2_S2_S2_EEv20rocsparse_operation_S3_20rocsparse_direction_T2_S5_NS_24const_host_device_scalarIT1_EES5_S5_PKS5_PKT3_PKT4_l16rocsparse_order_S8_PT5_lSH_21rocsparse_index_base_b,"axG",@progbits,_ZN9rocsparseL30bellmm_general_blockdim_kernelILi32ELi32E21rocsparse_complex_numIfElS2_S2_S2_EEv20rocsparse_operation_S3_20rocsparse_direction_T2_S5_NS_24const_host_device_scalarIT1_EES5_S5_PKS5_PKT3_PKT4_l16rocsparse_order_S8_PT5_lSH_21rocsparse_index_base_b,comdat
.Lfunc_end7:
	.size	_ZN9rocsparseL30bellmm_general_blockdim_kernelILi32ELi32E21rocsparse_complex_numIfElS2_S2_S2_EEv20rocsparse_operation_S3_20rocsparse_direction_T2_S5_NS_24const_host_device_scalarIT1_EES5_S5_PKS5_PKT3_PKT4_l16rocsparse_order_S8_PT5_lSH_21rocsparse_index_base_b, .Lfunc_end7-_ZN9rocsparseL30bellmm_general_blockdim_kernelILi32ELi32E21rocsparse_complex_numIfElS2_S2_S2_EEv20rocsparse_operation_S3_20rocsparse_direction_T2_S5_NS_24const_host_device_scalarIT1_EES5_S5_PKS5_PKT3_PKT4_l16rocsparse_order_S8_PT5_lSH_21rocsparse_index_base_b
                                        ; -- End function
	.set _ZN9rocsparseL30bellmm_general_blockdim_kernelILi32ELi32E21rocsparse_complex_numIfElS2_S2_S2_EEv20rocsparse_operation_S3_20rocsparse_direction_T2_S5_NS_24const_host_device_scalarIT1_EES5_S5_PKS5_PKT3_PKT4_l16rocsparse_order_S8_PT5_lSH_21rocsparse_index_base_b.num_vgpr, 70
	.set _ZN9rocsparseL30bellmm_general_blockdim_kernelILi32ELi32E21rocsparse_complex_numIfElS2_S2_S2_EEv20rocsparse_operation_S3_20rocsparse_direction_T2_S5_NS_24const_host_device_scalarIT1_EES5_S5_PKS5_PKT3_PKT4_l16rocsparse_order_S8_PT5_lSH_21rocsparse_index_base_b.num_agpr, 0
	.set _ZN9rocsparseL30bellmm_general_blockdim_kernelILi32ELi32E21rocsparse_complex_numIfElS2_S2_S2_EEv20rocsparse_operation_S3_20rocsparse_direction_T2_S5_NS_24const_host_device_scalarIT1_EES5_S5_PKS5_PKT3_PKT4_l16rocsparse_order_S8_PT5_lSH_21rocsparse_index_base_b.numbered_sgpr, 55
	.set _ZN9rocsparseL30bellmm_general_blockdim_kernelILi32ELi32E21rocsparse_complex_numIfElS2_S2_S2_EEv20rocsparse_operation_S3_20rocsparse_direction_T2_S5_NS_24const_host_device_scalarIT1_EES5_S5_PKS5_PKT3_PKT4_l16rocsparse_order_S8_PT5_lSH_21rocsparse_index_base_b.num_named_barrier, 0
	.set _ZN9rocsparseL30bellmm_general_blockdim_kernelILi32ELi32E21rocsparse_complex_numIfElS2_S2_S2_EEv20rocsparse_operation_S3_20rocsparse_direction_T2_S5_NS_24const_host_device_scalarIT1_EES5_S5_PKS5_PKT3_PKT4_l16rocsparse_order_S8_PT5_lSH_21rocsparse_index_base_b.private_seg_size, 0
	.set _ZN9rocsparseL30bellmm_general_blockdim_kernelILi32ELi32E21rocsparse_complex_numIfElS2_S2_S2_EEv20rocsparse_operation_S3_20rocsparse_direction_T2_S5_NS_24const_host_device_scalarIT1_EES5_S5_PKS5_PKT3_PKT4_l16rocsparse_order_S8_PT5_lSH_21rocsparse_index_base_b.uses_vcc, 1
	.set _ZN9rocsparseL30bellmm_general_blockdim_kernelILi32ELi32E21rocsparse_complex_numIfElS2_S2_S2_EEv20rocsparse_operation_S3_20rocsparse_direction_T2_S5_NS_24const_host_device_scalarIT1_EES5_S5_PKS5_PKT3_PKT4_l16rocsparse_order_S8_PT5_lSH_21rocsparse_index_base_b.uses_flat_scratch, 1
	.set _ZN9rocsparseL30bellmm_general_blockdim_kernelILi32ELi32E21rocsparse_complex_numIfElS2_S2_S2_EEv20rocsparse_operation_S3_20rocsparse_direction_T2_S5_NS_24const_host_device_scalarIT1_EES5_S5_PKS5_PKT3_PKT4_l16rocsparse_order_S8_PT5_lSH_21rocsparse_index_base_b.has_dyn_sized_stack, 0
	.set _ZN9rocsparseL30bellmm_general_blockdim_kernelILi32ELi32E21rocsparse_complex_numIfElS2_S2_S2_EEv20rocsparse_operation_S3_20rocsparse_direction_T2_S5_NS_24const_host_device_scalarIT1_EES5_S5_PKS5_PKT3_PKT4_l16rocsparse_order_S8_PT5_lSH_21rocsparse_index_base_b.has_recursion, 0
	.set _ZN9rocsparseL30bellmm_general_blockdim_kernelILi32ELi32E21rocsparse_complex_numIfElS2_S2_S2_EEv20rocsparse_operation_S3_20rocsparse_direction_T2_S5_NS_24const_host_device_scalarIT1_EES5_S5_PKS5_PKT3_PKT4_l16rocsparse_order_S8_PT5_lSH_21rocsparse_index_base_b.has_indirect_call, 0
	.section	.AMDGPU.csdata,"",@progbits
; Kernel info:
; codeLenInByte = 6672
; TotalNumSgprs: 57
; NumVgprs: 70
; ScratchSize: 0
; MemoryBound: 0
; FloatMode: 240
; IeeeMode: 1
; LDSByteSize: 16384 bytes/workgroup (compile time only)
; SGPRBlocks: 0
; VGPRBlocks: 4
; NumSGPRsForWavesPerEU: 57
; NumVGPRsForWavesPerEU: 70
; NamedBarCnt: 0
; Occupancy: 12
; WaveLimiterHint : 1
; COMPUTE_PGM_RSRC2:SCRATCH_EN: 0
; COMPUTE_PGM_RSRC2:USER_SGPR: 2
; COMPUTE_PGM_RSRC2:TRAP_HANDLER: 0
; COMPUTE_PGM_RSRC2:TGID_X_EN: 1
; COMPUTE_PGM_RSRC2:TGID_Y_EN: 1
; COMPUTE_PGM_RSRC2:TGID_Z_EN: 0
; COMPUTE_PGM_RSRC2:TIDIG_COMP_CNT: 1
	.section	.text._ZN9rocsparseL30bellmm_general_blockdim_kernelILi32ELi32E21rocsparse_complex_numIdEiS2_S2_S2_EEv20rocsparse_operation_S3_20rocsparse_direction_T2_S5_NS_24const_host_device_scalarIT1_EES5_S5_PKS5_PKT3_PKT4_l16rocsparse_order_S8_PT5_lSH_21rocsparse_index_base_b,"axG",@progbits,_ZN9rocsparseL30bellmm_general_blockdim_kernelILi32ELi32E21rocsparse_complex_numIdEiS2_S2_S2_EEv20rocsparse_operation_S3_20rocsparse_direction_T2_S5_NS_24const_host_device_scalarIT1_EES5_S5_PKS5_PKT3_PKT4_l16rocsparse_order_S8_PT5_lSH_21rocsparse_index_base_b,comdat
	.globl	_ZN9rocsparseL30bellmm_general_blockdim_kernelILi32ELi32E21rocsparse_complex_numIdEiS2_S2_S2_EEv20rocsparse_operation_S3_20rocsparse_direction_T2_S5_NS_24const_host_device_scalarIT1_EES5_S5_PKS5_PKT3_PKT4_l16rocsparse_order_S8_PT5_lSH_21rocsparse_index_base_b ; -- Begin function _ZN9rocsparseL30bellmm_general_blockdim_kernelILi32ELi32E21rocsparse_complex_numIdEiS2_S2_S2_EEv20rocsparse_operation_S3_20rocsparse_direction_T2_S5_NS_24const_host_device_scalarIT1_EES5_S5_PKS5_PKT3_PKT4_l16rocsparse_order_S8_PT5_lSH_21rocsparse_index_base_b
	.p2align	8
	.type	_ZN9rocsparseL30bellmm_general_blockdim_kernelILi32ELi32E21rocsparse_complex_numIdEiS2_S2_S2_EEv20rocsparse_operation_S3_20rocsparse_direction_T2_S5_NS_24const_host_device_scalarIT1_EES5_S5_PKS5_PKT3_PKT4_l16rocsparse_order_S8_PT5_lSH_21rocsparse_index_base_b,@function
_ZN9rocsparseL30bellmm_general_blockdim_kernelILi32ELi32E21rocsparse_complex_numIdEiS2_S2_S2_EEv20rocsparse_operation_S3_20rocsparse_direction_T2_S5_NS_24const_host_device_scalarIT1_EES5_S5_PKS5_PKT3_PKT4_l16rocsparse_order_S8_PT5_lSH_21rocsparse_index_base_b: ; @_ZN9rocsparseL30bellmm_general_blockdim_kernelILi32ELi32E21rocsparse_complex_numIdEiS2_S2_S2_EEv20rocsparse_operation_S3_20rocsparse_direction_T2_S5_NS_24const_host_device_scalarIT1_EES5_S5_PKS5_PKT3_PKT4_l16rocsparse_order_S8_PT5_lSH_21rocsparse_index_base_b
; %bb.0:
	s_clause 0x1
	s_load_b96 s[20:22], s[0:1], 0x78
	s_load_b64 s[2:3], s[0:1], 0x18
	v_mov_b32_e32 v1, 0
	s_add_nc_u64 s[4:5], s[0:1], 24
	s_load_b64 s[6:7], s[0:1], 0x58
	s_wait_kmcnt 0x0
	s_bitcmp1_b32 s22, 0
	s_cselect_b32 s3, s5, s3
	s_cselect_b32 s2, s4, s2
	flat_load_b128 v[2:5], v1, s[2:3]
	s_wait_xcnt 0x0
	s_add_nc_u64 s[2:3], s[0:1], 0x58
	s_delay_alu instid0(SALU_CYCLE_1)
	s_cselect_b32 s3, s3, s7
	s_cselect_b32 s2, s2, s6
	flat_load_b128 v[6:9], v1, s[2:3]
	s_wait_loadcnt_dscnt 0x101
	v_cmp_eq_f64_e32 vcc_lo, 0, v[2:3]
	s_wait_xcnt 0x0
	v_cmp_eq_f64_e64 s2, 0, v[4:5]
	s_and_b32 s4, vcc_lo, s2
	s_mov_b32 s2, -1
	s_and_saveexec_b32 s3, s4
	s_cbranch_execz .LBB8_2
; %bb.1:
	s_wait_loadcnt_dscnt 0x0
	v_cmp_neq_f64_e32 vcc_lo, 1.0, v[6:7]
	v_cmp_neq_f64_e64 s2, 0, v[8:9]
	s_or_b32 s2, vcc_lo, s2
	s_delay_alu instid0(SALU_CYCLE_1)
	s_or_not1_b32 s2, s2, exec_lo
.LBB8_2:
	s_or_b32 exec_lo, exec_lo, s3
	s_and_saveexec_b32 s3, s2
	s_cbranch_execz .LBB8_62
; %bb.3:
	s_clause 0x1
	s_load_b128 s[12:15], s[0:1], 0x0
	s_load_b64 s[2:3], s[0:1], 0x28
	s_bfe_u32 s4, ttmp6, 0x4000c
	s_and_b32 s5, ttmp6, 15
	s_add_co_i32 s4, s4, 1
	s_getreg_b32 s16, hwreg(HW_REG_IB_STS2, 6, 4)
	s_mul_i32 s4, ttmp9, s4
	s_mov_b32 s23, 0
	s_add_co_i32 s5, s5, s4
	s_cmp_eq_u32 s16, 0
	s_cselect_b32 s22, ttmp9, s5
	s_wait_kmcnt 0x0
	s_cmp_lt_i32 s22, s15
	s_cselect_b32 s27, -1, 0
	s_cmp_ge_i32 s22, s15
	s_cbranch_scc1 .LBB8_5
; %bb.4:
	s_abs_i32 s4, s3
	s_abs_i32 s7, s2
	s_cvt_f32_u32 s5, s4
	s_sub_co_i32 s6, 0, s4
	s_xor_b32 s2, s2, s3
	s_delay_alu instid0(SALU_CYCLE_1) | instskip(SKIP_2) | instid1(TRANS32_DEP_1)
	s_ashr_i32 s2, s2, 31
	v_rcp_iflag_f32_e32 v1, s5
	v_nop
	v_readfirstlane_b32 s5, v1
	s_mul_f32 s5, s5, 0x4f7ffffe
	s_delay_alu instid0(SALU_CYCLE_3) | instskip(NEXT) | instid1(SALU_CYCLE_3)
	s_cvt_u32_f32 s5, s5
	s_mul_i32 s6, s6, s5
	s_delay_alu instid0(SALU_CYCLE_1) | instskip(NEXT) | instid1(SALU_CYCLE_1)
	s_mul_hi_u32 s6, s5, s6
	s_add_co_i32 s5, s5, s6
	s_delay_alu instid0(SALU_CYCLE_1) | instskip(NEXT) | instid1(SALU_CYCLE_1)
	s_mul_hi_u32 s5, s7, s5
	s_mul_i32 s6, s5, s4
	s_delay_alu instid0(SALU_CYCLE_1)
	s_sub_co_i32 s6, s7, s6
	s_add_co_i32 s7, s5, 1
	s_sub_co_i32 s8, s6, s4
	s_cmp_ge_u32 s6, s4
	s_cselect_b32 s5, s7, s5
	s_cselect_b32 s6, s8, s6
	s_add_co_i32 s7, s5, 1
	s_cmp_ge_u32 s6, s4
	s_cselect_b32 s4, s7, s5
	s_delay_alu instid0(SALU_CYCLE_1) | instskip(NEXT) | instid1(SALU_CYCLE_1)
	s_xor_b32 s4, s4, s2
	s_sub_co_i32 s23, s4, s2
.LBB8_5:
	s_cmp_lt_i32 s3, 1
	s_cbranch_scc1 .LBB8_62
; %bb.6:
	s_bfe_u32 s2, ttmp6, 0x40010
	s_load_b256 s[4:11], s[0:1], 0x30
	s_add_co_i32 s2, s2, 1
	s_bfe_u32 s17, ttmp6, 0x40004
	s_mul_i32 s2, ttmp7, s2
	v_bfe_u32 v28, v0, 10, 10
	s_add_co_i32 s2, s17, s2
	s_cmp_eq_u32 s16, 0
	s_clause 0x1
	s_load_b128 s[16:19], s[0:1], 0x68
	s_load_b32 s26, s[0:1], 0x50
	s_cselect_b32 s2, ttmp7, s2
	s_wait_xcnt 0x0
	s_load_b32 s0, s[0:1], 0x10
	v_lshl_add_u32 v14, s2, 5, v28
	s_wait_loadcnt_dscnt 0x0
	v_cmp_neq_f64_e32 vcc_lo, 0, v[6:7]
	s_wait_xcnt 0x0
	v_cmp_neq_f64_e64 s1, 0, v[8:9]
	s_cmp_gt_i32 s23, 0
	v_and_b32_e32 v29, 0x3ff, v0
	v_dual_ashrrev_i32 v15, 31, v14 :: v_dual_mov_b32 v1, 0
	s_cselect_b32 s25, -1, 0
	s_cmp_eq_u32 s13, 0x6f
	s_delay_alu instid0(VALU_DEP_2)
	v_dual_lshlrev_b32 v30, 4, v29 :: v_dual_lshlrev_b32 v0, 9, v28
	s_wait_kmcnt 0x0
	v_mul_u64_e32 v[10:11], s[10:11], v[14:15]
	s_cselect_b32 s28, -1, 0
	v_lshl_add_u64 v[18:19], v[14:15], 4, s[8:9]
	v_or_b32_e32 v12, 0x4000, v30
	v_add_nc_u32_e32 v31, 0x4000, v0
	v_mul_u64_e32 v[16:17], s[18:19], v[14:15]
	s_cmp_lg_u32 s26, 1
	s_delay_alu instid0(VALU_DEP_3)
	v_dual_add_nc_u32 v32, v30, v0 :: v_dual_add_nc_u32 v33, v12, v0
	s_cselect_b32 s29, -1, 0
	s_cmp_lg_u32 s14, 0
	v_cmp_gt_i32_e64 s0, s0, v14
	s_cselect_b32 s14, -1, 0
	s_cmp_eq_u32 s13, 0x71
	s_mov_b32 s2, 0
	s_cselect_b32 s26, -1, 0
	s_cmp_lg_u32 s13, 0x71
	s_mul_i32 s24, s3, s22
	s_cselect_b32 s13, -1, 0
	s_cmp_lg_u32 s12, 0x71
	s_cselect_b32 s30, -1, 0
	s_delay_alu instid0(SALU_CYCLE_1)
	s_and_b32 s31, s30, s26
	s_or_b32 s12, s30, s13
	s_or_b32 s13, s30, s26
	s_xor_b32 s26, s31, -1
	s_cmp_lg_u32 s20, 1
	s_cselect_b32 s20, -1, 0
	s_and_b32 s27, s27, s0
	v_lshl_add_u64 v[20:21], v[10:11], 4, s[8:9]
	s_xor_b32 s9, s28, s29
	s_or_b32 s8, vcc_lo, s1
	s_xor_b32 s9, s9, -1
	s_branch .LBB8_8
.LBB8_7:                                ;   in Loop: Header=BB8_8 Depth=1
	s_wait_xcnt 0x0
	s_or_b32 exec_lo, exec_lo, s1
	s_add_co_i32 s2, s2, 32
	s_delay_alu instid0(SALU_CYCLE_1)
	s_cmp_lt_i32 s2, s3
	s_cbranch_scc0 .LBB8_62
.LBB8_8:                                ; =>This Loop Header: Depth=1
                                        ;     Child Loop BB8_11 Depth 2
                                        ;       Child Loop BB8_14 Depth 3
                                        ;         Child Loop BB8_35 Depth 4
                                        ;         Child Loop BB8_39 Depth 4
	;; [unrolled: 1-line block ×4, first 2 shown]
	v_add_nc_u32_e32 v34, s2, v29
	v_mov_b64_e32 v[24:25], 0
	v_mov_b64_e32 v[22:23], 0
	s_and_not1_b32 vcc_lo, exec_lo, s25
	s_delay_alu instid0(VALU_DEP_3)
	v_cmp_gt_i32_e64 s1, s3, v34
	s_cbranch_vccnz .LBB8_53
; %bb.9:                                ;   in Loop: Header=BB8_8 Depth=1
	s_mov_b32 s28, 0
	s_branch .LBB8_11
.LBB8_10:                               ;   in Loop: Header=BB8_11 Depth=2
	s_add_co_i32 s28, s28, 1
	s_delay_alu instid0(SALU_CYCLE_1)
	s_cmp_eq_u32 s28, s23
	s_cbranch_scc1 .LBB8_53
.LBB8_11:                               ;   Parent Loop BB8_8 Depth=1
                                        ; =>  This Loop Header: Depth=2
                                        ;       Child Loop BB8_14 Depth 3
                                        ;         Child Loop BB8_35 Depth 4
                                        ;         Child Loop BB8_39 Depth 4
	;; [unrolled: 1-line block ×4, first 2 shown]
	s_mul_i32 s29, s28, s15
	s_mov_b32 s33, 0
	s_add_co_i32 s30, s29, s22
	s_delay_alu instid0(SALU_CYCLE_1)
	s_ashr_i32 s31, s30, 31
	s_mul_i32 s29, s30, s3
	s_lshl_b64 s[34:35], s[30:31], 2
	v_add_nc_u32_e32 v0, s29, v34
	s_add_nc_u64 s[34:35], s[4:5], s[34:35]
	s_load_b32 s31, s[34:35], 0x0
	s_delay_alu instid0(VALU_DEP_1) | instskip(SKIP_2) | instid1(SALU_CYCLE_1)
	v_mul_lo_u32 v35, v0, s3
	s_wait_kmcnt 0x0
	s_sub_co_i32 s31, s31, s21
	s_cmp_gt_i32 s31, -1
	s_mul_i32 s31, s31, s3
	s_cselect_b32 s30, -1, 0
	s_branch .LBB8_14
.LBB8_12:                               ;   in Loop: Header=BB8_14 Depth=3
	s_delay_alu instid0(VALU_DEP_1) | instskip(NEXT) | instid1(VALU_DEP_2)
	v_mov_b64_e32 v[22:23], v[10:11]
	v_mov_b64_e32 v[24:25], v[12:13]
.LBB8_13:                               ;   in Loop: Header=BB8_14 Depth=3
	s_add_co_i32 s33, s33, 32
	s_delay_alu instid0(SALU_CYCLE_1)
	s_cmp_ge_i32 s33, s3
	s_barrier_signal -1
	s_barrier_wait -1
	s_cbranch_scc1 .LBB8_10
.LBB8_14:                               ;   Parent Loop BB8_8 Depth=1
                                        ;     Parent Loop BB8_11 Depth=2
                                        ; =>    This Loop Header: Depth=3
                                        ;         Child Loop BB8_35 Depth 4
                                        ;         Child Loop BB8_39 Depth 4
	;; [unrolled: 1-line block ×4, first 2 shown]
	v_add_nc_u32_e32 v10, s33, v29
	s_delay_alu instid0(VALU_DEP_1)
	v_cmp_gt_i32_e32 vcc_lo, s3, v10
	s_wait_xcnt 0x0
	s_and_b32 s34, s0, vcc_lo
	s_and_b32 vcc_lo, exec_lo, s9
	s_and_b32 s35, s34, s30
	s_cbranch_vccz .LBB8_18
; %bb.15:                               ;   in Loop: Header=BB8_14 Depth=3
	s_mov_b32 s36, 0
	s_mov_b32 s34, 0
                                        ; implicit-def: $vgpr26_vgpr27
	s_and_saveexec_b32 s37, s35
	s_delay_alu instid0(SALU_CYCLE_1)
	s_xor_b32 s37, exec_lo, s37
	s_cbranch_execz .LBB8_17
; %bb.16:                               ;   in Loop: Header=BB8_14 Depth=3
	v_add_nc_u32_e32 v0, s31, v10
	s_mov_b32 s34, exec_lo
	s_delay_alu instid0(VALU_DEP_1) | instskip(NEXT) | instid1(VALU_DEP_1)
	v_mul_u64_e32 v[12:13], s[10:11], v[0:1]
	v_lshl_add_u64 v[26:27], v[12:13], 4, v[18:19]
.LBB8_17:                               ;   in Loop: Header=BB8_14 Depth=3
	s_or_b32 exec_lo, exec_lo, s37
	s_delay_alu instid0(SALU_CYCLE_1)
	s_and_b32 vcc_lo, exec_lo, s36
	s_cbranch_vccnz .LBB8_19
	s_branch .LBB8_22
.LBB8_18:                               ;   in Loop: Header=BB8_14 Depth=3
	s_mov_b32 s34, 0
                                        ; implicit-def: $vgpr26_vgpr27
	s_cbranch_execz .LBB8_22
.LBB8_19:                               ;   in Loop: Header=BB8_14 Depth=3
                                        ; implicit-def: $vgpr26_vgpr27
	s_and_saveexec_b32 s36, s35
; %bb.20:                               ;   in Loop: Header=BB8_14 Depth=3
	v_add_nc_u32_e32 v0, s31, v10
	s_or_b32 s34, s34, exec_lo
	s_delay_alu instid0(VALU_DEP_1)
	v_lshl_add_u64 v[26:27], v[0:1], 4, v[20:21]
; %bb.21:                               ;   in Loop: Header=BB8_14 Depth=3
	s_or_b32 exec_lo, exec_lo, s36
.LBB8_22:                               ;   in Loop: Header=BB8_14 Depth=3
	v_mov_b64_e32 v[10:11], 0
	v_mov_b64_e32 v[12:13], 0
	s_and_saveexec_b32 s35, s34
	s_cbranch_execz .LBB8_24
; %bb.23:                               ;   in Loop: Header=BB8_14 Depth=3
	global_load_b128 v[10:13], v[26:27], off
.LBB8_24:                               ;   in Loop: Header=BB8_14 Depth=3
	s_wait_xcnt 0x0
	s_or_b32 exec_lo, exec_lo, s35
	v_add_nc_u32_e32 v26, s33, v28
	s_wait_loadcnt 0x0
	ds_store_b128 v33, v[10:13]
	v_cmp_gt_i32_e32 vcc_lo, s3, v26
	s_and_b32 s34, s1, vcc_lo
	s_and_b32 vcc_lo, exec_lo, s14
	s_and_b32 s35, s34, s30
	s_cbranch_vccz .LBB8_49
; %bb.25:                               ;   in Loop: Header=BB8_14 Depth=3
	s_mov_b32 s36, 0
	s_mov_b32 s34, 0
                                        ; implicit-def: $vgpr0
	s_and_saveexec_b32 s37, s35
	s_delay_alu instid0(SALU_CYCLE_1)
	s_xor_b32 s37, exec_lo, s37
; %bb.26:                               ;   in Loop: Header=BB8_14 Depth=3
	v_add_nc_u32_e32 v0, s29, v26
	s_mov_b32 s34, exec_lo
	s_delay_alu instid0(VALU_DEP_1)
	v_mad_u32 v0, v0, s3, v34
; %bb.27:                               ;   in Loop: Header=BB8_14 Depth=3
	s_or_b32 exec_lo, exec_lo, s37
	s_delay_alu instid0(SALU_CYCLE_1)
	s_and_b32 vcc_lo, exec_lo, s36
	s_cbranch_vccnz .LBB8_50
.LBB8_28:                               ;   in Loop: Header=BB8_14 Depth=3
	v_mov_b64_e32 v[10:11], 0
	v_mov_b64_e32 v[12:13], 0
	s_and_saveexec_b32 s35, s34
	s_cbranch_execz .LBB8_30
.LBB8_29:                               ;   in Loop: Header=BB8_14 Depth=3
	global_load_b128 v[10:13], v0, s[6:7] scale_offset
.LBB8_30:                               ;   in Loop: Header=BB8_14 Depth=3
	s_wait_xcnt 0x0
	s_or_b32 exec_lo, exec_lo, s35
	s_delay_alu instid0(SALU_CYCLE_1)
	s_and_not1_b32 vcc_lo, exec_lo, s30
	s_wait_loadcnt 0x0
	ds_store_b128 v32, v[10:13]
	s_wait_dscnt 0x0
	s_barrier_signal -1
	s_barrier_wait -1
	s_cbranch_vccnz .LBB8_13
; %bb.31:                               ;   in Loop: Header=BB8_14 Depth=3
	s_and_b32 vcc_lo, exec_lo, s12
	s_mov_b32 s34, -1
                                        ; implicit-def: $vgpr12_vgpr13
                                        ; implicit-def: $vgpr10_vgpr11
	s_cbranch_vccz .LBB8_45
; %bb.32:                               ;   in Loop: Header=BB8_14 Depth=3
	s_and_b32 vcc_lo, exec_lo, s26
                                        ; implicit-def: $vgpr12_vgpr13
                                        ; implicit-def: $vgpr10_vgpr11
	s_cbranch_vccz .LBB8_41
; %bb.33:                               ;   in Loop: Header=BB8_14 Depth=3
	s_and_not1_b32 vcc_lo, exec_lo, s13
                                        ; implicit-def: $vgpr12_vgpr13
                                        ; implicit-def: $vgpr10_vgpr11
	s_cbranch_vccnz .LBB8_37
; %bb.34:                               ;   in Loop: Header=BB8_14 Depth=3
	v_mov_b64_e32 v[12:13], v[24:25]
	v_mov_b64_e32 v[10:11], v[22:23]
	v_mov_b32_e32 v0, v30
	s_mov_b32 s34, 0
.LBB8_35:                               ;   Parent Loop BB8_8 Depth=1
                                        ;     Parent Loop BB8_11 Depth=2
                                        ;       Parent Loop BB8_14 Depth=3
                                        ; =>      This Inner Loop Header: Depth=4
	s_delay_alu instid0(SALU_CYCLE_1)
	v_add_nc_u32_e32 v26, s34, v31
	s_addk_co_i32 s34, 0x80
	ds_load_b128 v[36:39], v0
	ds_load_b128 v[40:43], v26
	ds_load_b128 v[44:47], v0 offset:512
	ds_load_b128 v[48:51], v26 offset:16
	s_cmp_lg_u32 s34, 0x200
	s_wait_dscnt 0x2
	v_fmac_f64_e32 v[10:11], v[36:37], v[40:41]
	v_fmac_f64_e32 v[12:13], v[38:39], v[40:41]
	s_delay_alu instid0(VALU_DEP_2) | instskip(NEXT) | instid1(VALU_DEP_2)
	v_fma_f64 v[10:11], -v[38:39], v[42:43], v[10:11]
	v_fmac_f64_e32 v[12:13], v[36:37], v[42:43]
	s_wait_dscnt 0x0
	s_delay_alu instid0(VALU_DEP_2) | instskip(NEXT) | instid1(VALU_DEP_2)
	v_fmac_f64_e32 v[10:11], v[44:45], v[48:49]
	v_fmac_f64_e32 v[12:13], v[46:47], v[48:49]
	s_delay_alu instid0(VALU_DEP_2) | instskip(NEXT) | instid1(VALU_DEP_2)
	v_fma_f64 v[10:11], -v[46:47], v[50:51], v[10:11]
	v_fmac_f64_e32 v[12:13], v[44:45], v[50:51]
	ds_load_b128 v[36:39], v0 offset:1024
	ds_load_b128 v[40:43], v26 offset:32
	ds_load_b128 v[44:47], v0 offset:1536
	ds_load_b128 v[48:51], v26 offset:48
	s_wait_dscnt 0x2
	v_fmac_f64_e32 v[10:11], v[36:37], v[40:41]
	v_fmac_f64_e32 v[12:13], v[38:39], v[40:41]
	s_delay_alu instid0(VALU_DEP_2) | instskip(NEXT) | instid1(VALU_DEP_2)
	v_fma_f64 v[10:11], -v[38:39], v[42:43], v[10:11]
	v_fmac_f64_e32 v[12:13], v[36:37], v[42:43]
	s_wait_dscnt 0x0
	s_delay_alu instid0(VALU_DEP_2) | instskip(NEXT) | instid1(VALU_DEP_2)
	v_fmac_f64_e32 v[10:11], v[44:45], v[48:49]
	v_fmac_f64_e32 v[12:13], v[46:47], v[48:49]
	s_delay_alu instid0(VALU_DEP_2) | instskip(NEXT) | instid1(VALU_DEP_2)
	v_fma_f64 v[10:11], -v[46:47], v[50:51], v[10:11]
	v_fmac_f64_e32 v[12:13], v[44:45], v[50:51]
	ds_load_b128 v[36:39], v0 offset:2048
	ds_load_b128 v[40:43], v26 offset:64
	ds_load_b128 v[44:47], v0 offset:2560
	ds_load_b128 v[48:51], v26 offset:80
	;; [unrolled: 17-line block ×3, first 2 shown]
	v_add_nc_u32_e32 v0, 0x1000, v0
	s_wait_dscnt 0x2
	v_fmac_f64_e32 v[10:11], v[36:37], v[40:41]
	v_fmac_f64_e32 v[12:13], v[38:39], v[40:41]
	s_delay_alu instid0(VALU_DEP_2) | instskip(NEXT) | instid1(VALU_DEP_2)
	v_fma_f64 v[10:11], -v[38:39], v[42:43], v[10:11]
	v_fmac_f64_e32 v[12:13], v[36:37], v[42:43]
	s_wait_dscnt 0x0
	s_delay_alu instid0(VALU_DEP_2) | instskip(NEXT) | instid1(VALU_DEP_2)
	v_fmac_f64_e32 v[10:11], v[44:45], v[48:49]
	v_fmac_f64_e32 v[12:13], v[46:47], v[48:49]
	s_delay_alu instid0(VALU_DEP_2) | instskip(NEXT) | instid1(VALU_DEP_2)
	v_fma_f64 v[10:11], -v[46:47], v[50:51], v[10:11]
	v_fmac_f64_e32 v[12:13], v[44:45], v[50:51]
	s_cbranch_scc1 .LBB8_35
; %bb.36:                               ;   in Loop: Header=BB8_14 Depth=3
	s_mov_b32 s34, 0
.LBB8_37:                               ;   in Loop: Header=BB8_14 Depth=3
	s_delay_alu instid0(SALU_CYCLE_1)
	s_and_b32 vcc_lo, exec_lo, s34
	s_cbranch_vccz .LBB8_40
; %bb.38:                               ;   in Loop: Header=BB8_14 Depth=3
	v_mov_b64_e32 v[12:13], v[24:25]
	v_mov_b64_e32 v[10:11], v[22:23]
	v_mov_b32_e32 v0, v30
	s_mov_b32 s34, 0
.LBB8_39:                               ;   Parent Loop BB8_8 Depth=1
                                        ;     Parent Loop BB8_11 Depth=2
                                        ;       Parent Loop BB8_14 Depth=3
                                        ; =>      This Inner Loop Header: Depth=4
	s_delay_alu instid0(SALU_CYCLE_1)
	v_add_nc_u32_e32 v26, s34, v31
	s_addk_co_i32 s34, 0x80
	ds_load_b128 v[36:39], v0
	ds_load_b128 v[40:43], v26
	ds_load_b128 v[44:47], v0 offset:512
	ds_load_b128 v[48:51], v26 offset:16
	s_cmp_eq_u32 s34, 0x200
	s_wait_dscnt 0x2
	v_fmac_f64_e32 v[10:11], v[36:37], v[40:41]
	v_fma_f64 v[12:13], -v[38:39], v[40:41], v[12:13]
	s_delay_alu instid0(VALU_DEP_2) | instskip(NEXT) | instid1(VALU_DEP_2)
	v_fmac_f64_e32 v[10:11], v[38:39], v[42:43]
	v_fmac_f64_e32 v[12:13], v[36:37], v[42:43]
	s_wait_dscnt 0x0
	s_delay_alu instid0(VALU_DEP_2) | instskip(NEXT) | instid1(VALU_DEP_2)
	v_fmac_f64_e32 v[10:11], v[44:45], v[48:49]
	v_fma_f64 v[12:13], -v[46:47], v[48:49], v[12:13]
	s_delay_alu instid0(VALU_DEP_2) | instskip(NEXT) | instid1(VALU_DEP_2)
	v_fmac_f64_e32 v[10:11], v[46:47], v[50:51]
	v_fmac_f64_e32 v[12:13], v[44:45], v[50:51]
	ds_load_b128 v[36:39], v0 offset:1024
	ds_load_b128 v[40:43], v26 offset:32
	ds_load_b128 v[44:47], v0 offset:1536
	ds_load_b128 v[48:51], v26 offset:48
	s_wait_dscnt 0x2
	v_fmac_f64_e32 v[10:11], v[36:37], v[40:41]
	v_fma_f64 v[12:13], -v[38:39], v[40:41], v[12:13]
	s_delay_alu instid0(VALU_DEP_2) | instskip(NEXT) | instid1(VALU_DEP_2)
	v_fmac_f64_e32 v[10:11], v[38:39], v[42:43]
	v_fmac_f64_e32 v[12:13], v[36:37], v[42:43]
	s_wait_dscnt 0x0
	s_delay_alu instid0(VALU_DEP_2) | instskip(NEXT) | instid1(VALU_DEP_2)
	v_fmac_f64_e32 v[10:11], v[44:45], v[48:49]
	v_fma_f64 v[12:13], -v[46:47], v[48:49], v[12:13]
	s_delay_alu instid0(VALU_DEP_2) | instskip(NEXT) | instid1(VALU_DEP_2)
	v_fmac_f64_e32 v[10:11], v[46:47], v[50:51]
	v_fmac_f64_e32 v[12:13], v[44:45], v[50:51]
	ds_load_b128 v[36:39], v0 offset:2048
	ds_load_b128 v[40:43], v26 offset:64
	ds_load_b128 v[44:47], v0 offset:2560
	ds_load_b128 v[48:51], v26 offset:80
	;; [unrolled: 17-line block ×3, first 2 shown]
	v_add_nc_u32_e32 v0, 0x1000, v0
	s_wait_dscnt 0x2
	v_fmac_f64_e32 v[10:11], v[36:37], v[40:41]
	v_fma_f64 v[12:13], -v[38:39], v[40:41], v[12:13]
	s_delay_alu instid0(VALU_DEP_2) | instskip(NEXT) | instid1(VALU_DEP_2)
	v_fmac_f64_e32 v[10:11], v[38:39], v[42:43]
	v_fmac_f64_e32 v[12:13], v[36:37], v[42:43]
	s_wait_dscnt 0x0
	s_delay_alu instid0(VALU_DEP_2) | instskip(NEXT) | instid1(VALU_DEP_2)
	v_fmac_f64_e32 v[10:11], v[44:45], v[48:49]
	v_fma_f64 v[12:13], -v[46:47], v[48:49], v[12:13]
	s_delay_alu instid0(VALU_DEP_2) | instskip(NEXT) | instid1(VALU_DEP_2)
	v_fmac_f64_e32 v[10:11], v[46:47], v[50:51]
	v_fmac_f64_e32 v[12:13], v[44:45], v[50:51]
	s_cbranch_scc0 .LBB8_39
.LBB8_40:                               ;   in Loop: Header=BB8_14 Depth=3
	s_mov_b32 s34, 0
.LBB8_41:                               ;   in Loop: Header=BB8_14 Depth=3
	s_delay_alu instid0(SALU_CYCLE_1)
	s_and_not1_b32 vcc_lo, exec_lo, s34
	s_cbranch_vccnz .LBB8_44
; %bb.42:                               ;   in Loop: Header=BB8_14 Depth=3
	v_mov_b64_e32 v[12:13], v[24:25]
	v_mov_b64_e32 v[10:11], v[22:23]
	v_mov_b32_e32 v0, v30
	s_mov_b32 s34, 0
.LBB8_43:                               ;   Parent Loop BB8_8 Depth=1
                                        ;     Parent Loop BB8_11 Depth=2
                                        ;       Parent Loop BB8_14 Depth=3
                                        ; =>      This Inner Loop Header: Depth=4
	s_delay_alu instid0(SALU_CYCLE_1)
	v_add_nc_u32_e32 v26, s34, v31
	s_addk_co_i32 s34, 0x80
	ds_load_b128 v[36:39], v0
	ds_load_b128 v[40:43], v26
	ds_load_b128 v[44:47], v0 offset:512
	ds_load_b128 v[48:51], v26 offset:16
	s_cmp_eq_u32 s34, 0x200
	s_wait_dscnt 0x2
	v_fmac_f64_e32 v[10:11], v[36:37], v[40:41]
	v_fmac_f64_e32 v[12:13], v[38:39], v[40:41]
	s_delay_alu instid0(VALU_DEP_2) | instskip(NEXT) | instid1(VALU_DEP_2)
	v_fmac_f64_e32 v[10:11], v[38:39], v[42:43]
	v_fma_f64 v[12:13], v[36:37], -v[42:43], v[12:13]
	s_wait_dscnt 0x0
	s_delay_alu instid0(VALU_DEP_2) | instskip(NEXT) | instid1(VALU_DEP_2)
	v_fmac_f64_e32 v[10:11], v[44:45], v[48:49]
	v_fmac_f64_e32 v[12:13], v[46:47], v[48:49]
	s_delay_alu instid0(VALU_DEP_2) | instskip(NEXT) | instid1(VALU_DEP_2)
	v_fmac_f64_e32 v[10:11], v[46:47], v[50:51]
	v_fma_f64 v[12:13], v[44:45], -v[50:51], v[12:13]
	ds_load_b128 v[36:39], v0 offset:1024
	ds_load_b128 v[40:43], v26 offset:32
	ds_load_b128 v[44:47], v0 offset:1536
	ds_load_b128 v[48:51], v26 offset:48
	s_wait_dscnt 0x2
	v_fmac_f64_e32 v[10:11], v[36:37], v[40:41]
	v_fmac_f64_e32 v[12:13], v[38:39], v[40:41]
	s_delay_alu instid0(VALU_DEP_2) | instskip(NEXT) | instid1(VALU_DEP_2)
	v_fmac_f64_e32 v[10:11], v[38:39], v[42:43]
	v_fma_f64 v[12:13], v[36:37], -v[42:43], v[12:13]
	s_wait_dscnt 0x0
	s_delay_alu instid0(VALU_DEP_2) | instskip(NEXT) | instid1(VALU_DEP_2)
	v_fmac_f64_e32 v[10:11], v[44:45], v[48:49]
	v_fmac_f64_e32 v[12:13], v[46:47], v[48:49]
	s_delay_alu instid0(VALU_DEP_2) | instskip(NEXT) | instid1(VALU_DEP_2)
	v_fmac_f64_e32 v[10:11], v[46:47], v[50:51]
	v_fma_f64 v[12:13], v[44:45], -v[50:51], v[12:13]
	ds_load_b128 v[36:39], v0 offset:2048
	ds_load_b128 v[40:43], v26 offset:64
	ds_load_b128 v[44:47], v0 offset:2560
	ds_load_b128 v[48:51], v26 offset:80
	;; [unrolled: 17-line block ×3, first 2 shown]
	v_add_nc_u32_e32 v0, 0x1000, v0
	s_wait_dscnt 0x2
	v_fmac_f64_e32 v[10:11], v[36:37], v[40:41]
	v_fmac_f64_e32 v[12:13], v[38:39], v[40:41]
	s_delay_alu instid0(VALU_DEP_2) | instskip(NEXT) | instid1(VALU_DEP_2)
	v_fmac_f64_e32 v[10:11], v[38:39], v[42:43]
	v_fma_f64 v[12:13], v[36:37], -v[42:43], v[12:13]
	s_wait_dscnt 0x0
	s_delay_alu instid0(VALU_DEP_2) | instskip(NEXT) | instid1(VALU_DEP_2)
	v_fmac_f64_e32 v[10:11], v[44:45], v[48:49]
	v_fmac_f64_e32 v[12:13], v[46:47], v[48:49]
	s_delay_alu instid0(VALU_DEP_2) | instskip(NEXT) | instid1(VALU_DEP_2)
	v_fmac_f64_e32 v[10:11], v[46:47], v[50:51]
	v_fma_f64 v[12:13], v[44:45], -v[50:51], v[12:13]
	s_cbranch_scc0 .LBB8_43
.LBB8_44:                               ;   in Loop: Header=BB8_14 Depth=3
	s_mov_b32 s34, 0
.LBB8_45:                               ;   in Loop: Header=BB8_14 Depth=3
	s_delay_alu instid0(SALU_CYCLE_1)
	s_and_not1_b32 vcc_lo, exec_lo, s34
	s_cbranch_vccnz .LBB8_12
; %bb.46:                               ;   in Loop: Header=BB8_14 Depth=3
	v_mov_b32_e32 v0, v30
	s_mov_b32 s34, 0
.LBB8_47:                               ;   Parent Loop BB8_8 Depth=1
                                        ;     Parent Loop BB8_11 Depth=2
                                        ;       Parent Loop BB8_14 Depth=3
                                        ; =>      This Inner Loop Header: Depth=4
	s_delay_alu instid0(SALU_CYCLE_1)
	v_add_nc_u32_e32 v48, s34, v31
	s_addk_co_i32 s34, 0x80
	ds_load_b128 v[10:13], v0
	ds_load_b128 v[36:39], v48
	ds_load_b128 v[40:43], v0 offset:512
	ds_load_b128 v[44:47], v48 offset:16
	s_cmp_eq_u32 s34, 0x200
	s_wait_dscnt 0x2
	v_fmac_f64_e32 v[22:23], v[10:11], v[36:37]
	v_fma_f64 v[24:25], -v[12:13], v[36:37], v[24:25]
	s_delay_alu instid0(VALU_DEP_2) | instskip(NEXT) | instid1(VALU_DEP_2)
	v_fma_f64 v[12:13], v[12:13], -v[38:39], v[22:23]
	v_fma_f64 v[10:11], v[10:11], -v[38:39], v[24:25]
	s_wait_dscnt 0x0
	s_delay_alu instid0(VALU_DEP_2) | instskip(NEXT) | instid1(VALU_DEP_2)
	v_fmac_f64_e32 v[12:13], v[40:41], v[44:45]
	v_fma_f64 v[10:11], -v[42:43], v[44:45], v[10:11]
	s_delay_alu instid0(VALU_DEP_2) | instskip(NEXT) | instid1(VALU_DEP_2)
	v_fma_f64 v[26:27], v[42:43], -v[46:47], v[12:13]
	v_fma_f64 v[44:45], v[40:41], -v[46:47], v[10:11]
	ds_load_b128 v[10:13], v0 offset:1024
	ds_load_b128 v[22:25], v48 offset:32
	ds_load_b128 v[36:39], v0 offset:1536
	ds_load_b128 v[40:43], v48 offset:48
	s_wait_dscnt 0x2
	v_fmac_f64_e32 v[26:27], v[10:11], v[22:23]
	v_fma_f64 v[22:23], -v[12:13], v[22:23], v[44:45]
	s_delay_alu instid0(VALU_DEP_2) | instskip(NEXT) | instid1(VALU_DEP_2)
	v_fma_f64 v[12:13], v[12:13], -v[24:25], v[26:27]
	v_fma_f64 v[10:11], v[10:11], -v[24:25], v[22:23]
	s_wait_dscnt 0x0
	s_delay_alu instid0(VALU_DEP_2) | instskip(NEXT) | instid1(VALU_DEP_2)
	v_fmac_f64_e32 v[12:13], v[36:37], v[40:41]
	v_fma_f64 v[10:11], -v[38:39], v[40:41], v[10:11]
	s_delay_alu instid0(VALU_DEP_2) | instskip(NEXT) | instid1(VALU_DEP_2)
	v_fma_f64 v[26:27], v[38:39], -v[42:43], v[12:13]
	v_fma_f64 v[44:45], v[36:37], -v[42:43], v[10:11]
	ds_load_b128 v[10:13], v0 offset:2048
	ds_load_b128 v[22:25], v48 offset:64
	ds_load_b128 v[36:39], v0 offset:2560
	ds_load_b128 v[40:43], v48 offset:80
	;; [unrolled: 17-line block ×3, first 2 shown]
	v_add_nc_u32_e32 v0, 0x1000, v0
	s_wait_dscnt 0x2
	v_fmac_f64_e32 v[26:27], v[10:11], v[22:23]
	v_fma_f64 v[22:23], -v[12:13], v[22:23], v[44:45]
	s_delay_alu instid0(VALU_DEP_2) | instskip(NEXT) | instid1(VALU_DEP_2)
	v_fma_f64 v[12:13], v[12:13], -v[24:25], v[26:27]
	v_fma_f64 v[10:11], v[10:11], -v[24:25], v[22:23]
	s_wait_dscnt 0x0
	s_delay_alu instid0(VALU_DEP_2) | instskip(NEXT) | instid1(VALU_DEP_2)
	v_fmac_f64_e32 v[12:13], v[36:37], v[40:41]
	v_fma_f64 v[10:11], -v[38:39], v[40:41], v[10:11]
	s_delay_alu instid0(VALU_DEP_2) | instskip(NEXT) | instid1(VALU_DEP_2)
	v_fma_f64 v[22:23], v[38:39], -v[42:43], v[12:13]
	v_fma_f64 v[24:25], v[36:37], -v[42:43], v[10:11]
	s_cbranch_scc0 .LBB8_47
; %bb.48:                               ;   in Loop: Header=BB8_14 Depth=3
	s_delay_alu instid0(VALU_DEP_1) | instskip(NEXT) | instid1(VALU_DEP_3)
	v_mov_b64_e32 v[12:13], v[24:25]
	v_mov_b64_e32 v[10:11], v[22:23]
	s_branch .LBB8_12
.LBB8_49:                               ;   in Loop: Header=BB8_14 Depth=3
	s_mov_b32 s34, 0
                                        ; implicit-def: $vgpr0
	s_cbranch_execz .LBB8_28
.LBB8_50:                               ;   in Loop: Header=BB8_14 Depth=3
                                        ; implicit-def: $vgpr0
	s_and_saveexec_b32 s36, s35
; %bb.51:                               ;   in Loop: Header=BB8_14 Depth=3
	v_add_nc_u32_e32 v0, v26, v35
	s_or_b32 s34, s34, exec_lo
; %bb.52:                               ;   in Loop: Header=BB8_14 Depth=3
	s_or_b32 exec_lo, exec_lo, s36
	v_mov_b64_e32 v[10:11], 0
	v_mov_b64_e32 v[12:13], 0
	s_and_saveexec_b32 s35, s34
	s_cbranch_execnz .LBB8_29
	s_branch .LBB8_30
.LBB8_53:                               ;   in Loop: Header=BB8_8 Depth=1
	v_add_nc_u32_e32 v12, s24, v34
	s_and_b32 vcc_lo, exec_lo, s20
	s_mov_b32 s1, -1
                                        ; implicit-def: $vgpr10_vgpr11
	s_delay_alu instid0(VALU_DEP_1)
	v_ashrrev_i32_e32 v13, 31, v12
	s_cbranch_vccnz .LBB8_56
; %bb.54:                               ;   in Loop: Header=BB8_8 Depth=1
	s_and_not1_b32 vcc_lo, exec_lo, s1
	s_cbranch_vccz .LBB8_57
.LBB8_55:                               ;   in Loop: Header=BB8_8 Depth=1
	v_cmp_gt_i32_e32 vcc_lo, s3, v34
	s_and_b32 s28, s27, vcc_lo
	s_delay_alu instid0(SALU_CYCLE_1)
	s_and_saveexec_b32 s1, s28
	s_cbranch_execz .LBB8_7
	s_branch .LBB8_58
.LBB8_56:                               ;   in Loop: Header=BB8_8 Depth=1
	v_mad_nc_u64_u32 v[10:11], s18, v12, v[14:15]
	s_delay_alu instid0(VALU_DEP_1) | instskip(NEXT) | instid1(VALU_DEP_1)
	v_mad_u32 v0, s19, v12, v11
	v_mad_u32 v11, s18, v13, v0
	s_cbranch_execnz .LBB8_55
.LBB8_57:                               ;   in Loop: Header=BB8_8 Depth=1
	s_delay_alu instid0(VALU_DEP_1) | instskip(SKIP_2) | instid1(SALU_CYCLE_1)
	v_add_nc_u64_e32 v[10:11], v[16:17], v[12:13]
	v_cmp_gt_i32_e32 vcc_lo, s3, v34
	s_and_b32 s28, s27, vcc_lo
	s_and_saveexec_b32 s1, s28
	s_cbranch_execz .LBB8_7
.LBB8_58:                               ;   in Loop: Header=BB8_8 Depth=1
	s_and_saveexec_b32 s28, s8
	s_delay_alu instid0(SALU_CYCLE_1)
	s_xor_b32 s28, exec_lo, s28
	s_cbranch_execz .LBB8_60
; %bb.59:                               ;   in Loop: Header=BB8_8 Depth=1
	s_delay_alu instid0(VALU_DEP_2)
	v_lshl_add_u64 v[26:27], v[10:11], 4, s[16:17]
	v_mul_f64_e64 v[34:35], v[24:25], -v[4:5]
	v_mul_f64_e32 v[24:25], v[2:3], v[24:25]
	global_load_b128 v[10:13], v[26:27], off
	v_fmac_f64_e32 v[34:35], v[2:3], v[22:23]
	v_fmac_f64_e32 v[24:25], v[4:5], v[22:23]
	s_wait_loadcnt 0x0
	s_delay_alu instid0(VALU_DEP_2) | instskip(NEXT) | instid1(VALU_DEP_2)
	v_fmac_f64_e32 v[34:35], v[6:7], v[10:11]
	v_fmac_f64_e32 v[24:25], v[8:9], v[10:11]
                                        ; implicit-def: $vgpr10_vgpr11
	s_delay_alu instid0(VALU_DEP_2) | instskip(NEXT) | instid1(VALU_DEP_2)
	v_fma_f64 v[22:23], -v[8:9], v[12:13], v[34:35]
	v_fmac_f64_e32 v[24:25], v[6:7], v[12:13]
	global_store_b128 v[26:27], v[22:25], off
                                        ; implicit-def: $vgpr24_vgpr25
                                        ; implicit-def: $vgpr22_vgpr23
.LBB8_60:                               ;   in Loop: Header=BB8_8 Depth=1
	s_wait_xcnt 0x0
	s_and_not1_saveexec_b32 s28, s28
	s_cbranch_execz .LBB8_7
; %bb.61:                               ;   in Loop: Header=BB8_8 Depth=1
	v_mul_f64_e64 v[34:35], v[24:25], -v[4:5]
	v_mul_f64_e32 v[36:37], v[2:3], v[24:25]
	v_lshl_add_u64 v[10:11], v[10:11], 4, s[16:17]
	s_delay_alu instid0(VALU_DEP_3) | instskip(NEXT) | instid1(VALU_DEP_3)
	v_fmac_f64_e32 v[34:35], v[2:3], v[22:23]
	v_fmac_f64_e32 v[36:37], v[4:5], v[22:23]
	global_store_b128 v[10:11], v[34:37], off
	s_branch .LBB8_7
.LBB8_62:
	s_endpgm
	.section	.rodata,"a",@progbits
	.p2align	6, 0x0
	.amdhsa_kernel _ZN9rocsparseL30bellmm_general_blockdim_kernelILi32ELi32E21rocsparse_complex_numIdEiS2_S2_S2_EEv20rocsparse_operation_S3_20rocsparse_direction_T2_S5_NS_24const_host_device_scalarIT1_EES5_S5_PKS5_PKT3_PKT4_l16rocsparse_order_S8_PT5_lSH_21rocsparse_index_base_b
		.amdhsa_group_segment_fixed_size 32768
		.amdhsa_private_segment_fixed_size 0
		.amdhsa_kernarg_size 132
		.amdhsa_user_sgpr_count 2
		.amdhsa_user_sgpr_dispatch_ptr 0
		.amdhsa_user_sgpr_queue_ptr 0
		.amdhsa_user_sgpr_kernarg_segment_ptr 1
		.amdhsa_user_sgpr_dispatch_id 0
		.amdhsa_user_sgpr_kernarg_preload_length 0
		.amdhsa_user_sgpr_kernarg_preload_offset 0
		.amdhsa_user_sgpr_private_segment_size 0
		.amdhsa_wavefront_size32 1
		.amdhsa_uses_dynamic_stack 0
		.amdhsa_enable_private_segment 0
		.amdhsa_system_sgpr_workgroup_id_x 1
		.amdhsa_system_sgpr_workgroup_id_y 1
		.amdhsa_system_sgpr_workgroup_id_z 0
		.amdhsa_system_sgpr_workgroup_info 0
		.amdhsa_system_vgpr_workitem_id 1
		.amdhsa_next_free_vgpr 52
		.amdhsa_next_free_sgpr 38
		.amdhsa_named_barrier_count 0
		.amdhsa_reserve_vcc 1
		.amdhsa_float_round_mode_32 0
		.amdhsa_float_round_mode_16_64 0
		.amdhsa_float_denorm_mode_32 3
		.amdhsa_float_denorm_mode_16_64 3
		.amdhsa_fp16_overflow 0
		.amdhsa_memory_ordered 1
		.amdhsa_forward_progress 1
		.amdhsa_inst_pref_size 27
		.amdhsa_round_robin_scheduling 0
		.amdhsa_exception_fp_ieee_invalid_op 0
		.amdhsa_exception_fp_denorm_src 0
		.amdhsa_exception_fp_ieee_div_zero 0
		.amdhsa_exception_fp_ieee_overflow 0
		.amdhsa_exception_fp_ieee_underflow 0
		.amdhsa_exception_fp_ieee_inexact 0
		.amdhsa_exception_int_div_zero 0
	.end_amdhsa_kernel
	.section	.text._ZN9rocsparseL30bellmm_general_blockdim_kernelILi32ELi32E21rocsparse_complex_numIdEiS2_S2_S2_EEv20rocsparse_operation_S3_20rocsparse_direction_T2_S5_NS_24const_host_device_scalarIT1_EES5_S5_PKS5_PKT3_PKT4_l16rocsparse_order_S8_PT5_lSH_21rocsparse_index_base_b,"axG",@progbits,_ZN9rocsparseL30bellmm_general_blockdim_kernelILi32ELi32E21rocsparse_complex_numIdEiS2_S2_S2_EEv20rocsparse_operation_S3_20rocsparse_direction_T2_S5_NS_24const_host_device_scalarIT1_EES5_S5_PKS5_PKT3_PKT4_l16rocsparse_order_S8_PT5_lSH_21rocsparse_index_base_b,comdat
.Lfunc_end8:
	.size	_ZN9rocsparseL30bellmm_general_blockdim_kernelILi32ELi32E21rocsparse_complex_numIdEiS2_S2_S2_EEv20rocsparse_operation_S3_20rocsparse_direction_T2_S5_NS_24const_host_device_scalarIT1_EES5_S5_PKS5_PKT3_PKT4_l16rocsparse_order_S8_PT5_lSH_21rocsparse_index_base_b, .Lfunc_end8-_ZN9rocsparseL30bellmm_general_blockdim_kernelILi32ELi32E21rocsparse_complex_numIdEiS2_S2_S2_EEv20rocsparse_operation_S3_20rocsparse_direction_T2_S5_NS_24const_host_device_scalarIT1_EES5_S5_PKS5_PKT3_PKT4_l16rocsparse_order_S8_PT5_lSH_21rocsparse_index_base_b
                                        ; -- End function
	.set _ZN9rocsparseL30bellmm_general_blockdim_kernelILi32ELi32E21rocsparse_complex_numIdEiS2_S2_S2_EEv20rocsparse_operation_S3_20rocsparse_direction_T2_S5_NS_24const_host_device_scalarIT1_EES5_S5_PKS5_PKT3_PKT4_l16rocsparse_order_S8_PT5_lSH_21rocsparse_index_base_b.num_vgpr, 52
	.set _ZN9rocsparseL30bellmm_general_blockdim_kernelILi32ELi32E21rocsparse_complex_numIdEiS2_S2_S2_EEv20rocsparse_operation_S3_20rocsparse_direction_T2_S5_NS_24const_host_device_scalarIT1_EES5_S5_PKS5_PKT3_PKT4_l16rocsparse_order_S8_PT5_lSH_21rocsparse_index_base_b.num_agpr, 0
	.set _ZN9rocsparseL30bellmm_general_blockdim_kernelILi32ELi32E21rocsparse_complex_numIdEiS2_S2_S2_EEv20rocsparse_operation_S3_20rocsparse_direction_T2_S5_NS_24const_host_device_scalarIT1_EES5_S5_PKS5_PKT3_PKT4_l16rocsparse_order_S8_PT5_lSH_21rocsparse_index_base_b.numbered_sgpr, 38
	.set _ZN9rocsparseL30bellmm_general_blockdim_kernelILi32ELi32E21rocsparse_complex_numIdEiS2_S2_S2_EEv20rocsparse_operation_S3_20rocsparse_direction_T2_S5_NS_24const_host_device_scalarIT1_EES5_S5_PKS5_PKT3_PKT4_l16rocsparse_order_S8_PT5_lSH_21rocsparse_index_base_b.num_named_barrier, 0
	.set _ZN9rocsparseL30bellmm_general_blockdim_kernelILi32ELi32E21rocsparse_complex_numIdEiS2_S2_S2_EEv20rocsparse_operation_S3_20rocsparse_direction_T2_S5_NS_24const_host_device_scalarIT1_EES5_S5_PKS5_PKT3_PKT4_l16rocsparse_order_S8_PT5_lSH_21rocsparse_index_base_b.private_seg_size, 0
	.set _ZN9rocsparseL30bellmm_general_blockdim_kernelILi32ELi32E21rocsparse_complex_numIdEiS2_S2_S2_EEv20rocsparse_operation_S3_20rocsparse_direction_T2_S5_NS_24const_host_device_scalarIT1_EES5_S5_PKS5_PKT3_PKT4_l16rocsparse_order_S8_PT5_lSH_21rocsparse_index_base_b.uses_vcc, 1
	.set _ZN9rocsparseL30bellmm_general_blockdim_kernelILi32ELi32E21rocsparse_complex_numIdEiS2_S2_S2_EEv20rocsparse_operation_S3_20rocsparse_direction_T2_S5_NS_24const_host_device_scalarIT1_EES5_S5_PKS5_PKT3_PKT4_l16rocsparse_order_S8_PT5_lSH_21rocsparse_index_base_b.uses_flat_scratch, 0
	.set _ZN9rocsparseL30bellmm_general_blockdim_kernelILi32ELi32E21rocsparse_complex_numIdEiS2_S2_S2_EEv20rocsparse_operation_S3_20rocsparse_direction_T2_S5_NS_24const_host_device_scalarIT1_EES5_S5_PKS5_PKT3_PKT4_l16rocsparse_order_S8_PT5_lSH_21rocsparse_index_base_b.has_dyn_sized_stack, 0
	.set _ZN9rocsparseL30bellmm_general_blockdim_kernelILi32ELi32E21rocsparse_complex_numIdEiS2_S2_S2_EEv20rocsparse_operation_S3_20rocsparse_direction_T2_S5_NS_24const_host_device_scalarIT1_EES5_S5_PKS5_PKT3_PKT4_l16rocsparse_order_S8_PT5_lSH_21rocsparse_index_base_b.has_recursion, 0
	.set _ZN9rocsparseL30bellmm_general_blockdim_kernelILi32ELi32E21rocsparse_complex_numIdEiS2_S2_S2_EEv20rocsparse_operation_S3_20rocsparse_direction_T2_S5_NS_24const_host_device_scalarIT1_EES5_S5_PKS5_PKT3_PKT4_l16rocsparse_order_S8_PT5_lSH_21rocsparse_index_base_b.has_indirect_call, 0
	.section	.AMDGPU.csdata,"",@progbits
; Kernel info:
; codeLenInByte = 3412
; TotalNumSgprs: 40
; NumVgprs: 52
; ScratchSize: 0
; MemoryBound: 1
; FloatMode: 240
; IeeeMode: 1
; LDSByteSize: 32768 bytes/workgroup (compile time only)
; SGPRBlocks: 0
; VGPRBlocks: 3
; NumSGPRsForWavesPerEU: 40
; NumVGPRsForWavesPerEU: 52
; NamedBarCnt: 0
; Occupancy: 16
; WaveLimiterHint : 0
; COMPUTE_PGM_RSRC2:SCRATCH_EN: 0
; COMPUTE_PGM_RSRC2:USER_SGPR: 2
; COMPUTE_PGM_RSRC2:TRAP_HANDLER: 0
; COMPUTE_PGM_RSRC2:TGID_X_EN: 1
; COMPUTE_PGM_RSRC2:TGID_Y_EN: 1
; COMPUTE_PGM_RSRC2:TGID_Z_EN: 0
; COMPUTE_PGM_RSRC2:TIDIG_COMP_CNT: 1
	.section	.text._ZN9rocsparseL30bellmm_general_blockdim_kernelILi32ELi32E21rocsparse_complex_numIdElS2_S2_S2_EEv20rocsparse_operation_S3_20rocsparse_direction_T2_S5_NS_24const_host_device_scalarIT1_EES5_S5_PKS5_PKT3_PKT4_l16rocsparse_order_S8_PT5_lSH_21rocsparse_index_base_b,"axG",@progbits,_ZN9rocsparseL30bellmm_general_blockdim_kernelILi32ELi32E21rocsparse_complex_numIdElS2_S2_S2_EEv20rocsparse_operation_S3_20rocsparse_direction_T2_S5_NS_24const_host_device_scalarIT1_EES5_S5_PKS5_PKT3_PKT4_l16rocsparse_order_S8_PT5_lSH_21rocsparse_index_base_b,comdat
	.globl	_ZN9rocsparseL30bellmm_general_blockdim_kernelILi32ELi32E21rocsparse_complex_numIdElS2_S2_S2_EEv20rocsparse_operation_S3_20rocsparse_direction_T2_S5_NS_24const_host_device_scalarIT1_EES5_S5_PKS5_PKT3_PKT4_l16rocsparse_order_S8_PT5_lSH_21rocsparse_index_base_b ; -- Begin function _ZN9rocsparseL30bellmm_general_blockdim_kernelILi32ELi32E21rocsparse_complex_numIdElS2_S2_S2_EEv20rocsparse_operation_S3_20rocsparse_direction_T2_S5_NS_24const_host_device_scalarIT1_EES5_S5_PKS5_PKT3_PKT4_l16rocsparse_order_S8_PT5_lSH_21rocsparse_index_base_b
	.p2align	8
	.type	_ZN9rocsparseL30bellmm_general_blockdim_kernelILi32ELi32E21rocsparse_complex_numIdElS2_S2_S2_EEv20rocsparse_operation_S3_20rocsparse_direction_T2_S5_NS_24const_host_device_scalarIT1_EES5_S5_PKS5_PKT3_PKT4_l16rocsparse_order_S8_PT5_lSH_21rocsparse_index_base_b,@function
_ZN9rocsparseL30bellmm_general_blockdim_kernelILi32ELi32E21rocsparse_complex_numIdElS2_S2_S2_EEv20rocsparse_operation_S3_20rocsparse_direction_T2_S5_NS_24const_host_device_scalarIT1_EES5_S5_PKS5_PKT3_PKT4_l16rocsparse_order_S8_PT5_lSH_21rocsparse_index_base_b: ; @_ZN9rocsparseL30bellmm_general_blockdim_kernelILi32ELi32E21rocsparse_complex_numIdElS2_S2_S2_EEv20rocsparse_operation_S3_20rocsparse_direction_T2_S5_NS_24const_host_device_scalarIT1_EES5_S5_PKS5_PKT3_PKT4_l16rocsparse_order_S8_PT5_lSH_21rocsparse_index_base_b
; %bb.0:
	s_clause 0x1
	s_load_b96 s[24:26], s[0:1], 0x88
	s_load_b64 s[2:3], s[0:1], 0x20
	v_mov_b32_e32 v1, 0
	s_add_nc_u64 s[4:5], s[0:1], 32
	s_load_b64 s[6:7], s[0:1], 0x68
	s_wait_kmcnt 0x0
	s_bitcmp1_b32 s26, 0
	s_cselect_b32 s3, s5, s3
	s_cselect_b32 s2, s4, s2
	flat_load_b128 v[2:5], v1, s[2:3]
	s_wait_xcnt 0x0
	s_add_nc_u64 s[2:3], s[0:1], 0x68
	s_delay_alu instid0(SALU_CYCLE_1)
	s_cselect_b32 s3, s3, s7
	s_cselect_b32 s2, s2, s6
	flat_load_b128 v[6:9], v1, s[2:3]
	s_wait_loadcnt_dscnt 0x101
	v_cmp_eq_f64_e32 vcc_lo, 0, v[2:3]
	s_wait_xcnt 0x0
	v_cmp_eq_f64_e64 s2, 0, v[4:5]
	s_and_b32 s4, vcc_lo, s2
	s_mov_b32 s2, -1
	s_and_saveexec_b32 s3, s4
	s_cbranch_execz .LBB9_2
; %bb.1:
	s_wait_loadcnt_dscnt 0x0
	v_cmp_neq_f64_e32 vcc_lo, 1.0, v[6:7]
	v_cmp_neq_f64_e64 s2, 0, v[8:9]
	s_or_b32 s2, vcc_lo, s2
	s_delay_alu instid0(SALU_CYCLE_1)
	s_or_not1_b32 s2, s2, exec_lo
.LBB9_2:
	s_or_b32 exec_lo, exec_lo, s3
	s_and_saveexec_b32 s3, s2
	s_cbranch_execz .LBB9_65
; %bb.3:
	s_clause 0x1
	s_load_b128 s[12:15], s[0:1], 0x10
	s_load_b128 s[16:19], s[0:1], 0x30
	s_bfe_u32 s2, ttmp6, 0x4000c
	s_and_b32 s3, ttmp6, 15
	s_add_co_i32 s2, s2, 1
	s_getreg_b32 s20, hwreg(HW_REG_IB_STS2, 6, 4)
	s_mul_i32 s2, ttmp9, s2
	s_mov_b64 s[26:27], 0
	s_add_co_i32 s2, s3, s2
	s_cmp_eq_u32 s20, 0
	s_mov_b32 s3, 0
	s_cselect_b32 s2, ttmp9, s2
	s_wait_kmcnt 0x0
	v_cmp_le_i64_e64 s4, s[12:13], s[2:3]
	v_cmp_gt_i64_e64 s42, s[12:13], s[2:3]
	s_and_b32 vcc_lo, exec_lo, s4
	s_cbranch_vccnz .LBB9_7
; %bb.4:
	s_or_b64 s[4:5], s[16:17], s[18:19]
	s_delay_alu instid0(SALU_CYCLE_1) | instskip(NEXT) | instid1(SALU_CYCLE_1)
	s_and_b64 s[4:5], s[4:5], 0xffffffff00000000
	s_cmp_lg_u64 s[4:5], 0
	s_cbranch_scc0 .LBB9_66
; %bb.5:
	s_ashr_i32 s4, s19, 31
	s_delay_alu instid0(SALU_CYCLE_1) | instskip(NEXT) | instid1(SALU_CYCLE_1)
	s_mov_b32 s5, s4
	s_add_nc_u64 s[6:7], s[18:19], s[4:5]
	s_delay_alu instid0(SALU_CYCLE_1) | instskip(NEXT) | instid1(SALU_CYCLE_1)
	s_xor_b64 s[6:7], s[6:7], s[4:5]
	s_cvt_f32_u32 s8, s6
	s_cvt_f32_u32 s9, s7
	s_sub_nc_u64 s[22:23], 0, s[6:7]
	s_delay_alu instid0(SALU_CYCLE_2) | instskip(NEXT) | instid1(SALU_CYCLE_3)
	s_fmamk_f32 s8, s9, 0x4f800000, s8
	v_s_rcp_f32 s8, s8
	s_delay_alu instid0(TRANS32_DEP_1) | instskip(NEXT) | instid1(SALU_CYCLE_3)
	s_mul_f32 s8, s8, 0x5f7ffffc
	s_mul_f32 s9, s8, 0x2f800000
	s_delay_alu instid0(SALU_CYCLE_3) | instskip(NEXT) | instid1(SALU_CYCLE_3)
	s_trunc_f32 s9, s9
	s_fmamk_f32 s8, s9, 0xcf800000, s8
	s_cvt_u32_f32 s11, s9
	s_mov_b32 s9, 0
	s_delay_alu instid0(SALU_CYCLE_1) | instskip(NEXT) | instid1(SALU_CYCLE_3)
	s_cvt_u32_f32 s10, s8
	s_mul_u64 s[26:27], s[22:23], s[10:11]
	s_delay_alu instid0(SALU_CYCLE_1)
	s_mul_hi_u32 s29, s10, s27
	s_mul_i32 s28, s10, s27
	s_mul_hi_u32 s8, s10, s26
	s_mul_i32 s30, s11, s26
	s_add_nc_u64 s[28:29], s[8:9], s[28:29]
	s_mul_hi_u32 s21, s11, s26
	s_mul_hi_u32 s31, s11, s27
	s_add_co_u32 s8, s28, s30
	s_add_co_ci_u32 s8, s29, s21
	s_mul_i32 s26, s11, s27
	s_add_co_ci_u32 s27, s31, 0
	s_delay_alu instid0(SALU_CYCLE_1) | instskip(NEXT) | instid1(SALU_CYCLE_1)
	s_add_nc_u64 s[26:27], s[8:9], s[26:27]
	s_add_co_u32 s10, s10, s26
	s_cselect_b32 s8, -1, 0
	s_delay_alu instid0(SALU_CYCLE_1) | instskip(SKIP_1) | instid1(SALU_CYCLE_1)
	s_cmp_lg_u32 s8, 0
	s_add_co_ci_u32 s11, s11, s27
	s_mul_u64 s[22:23], s[22:23], s[10:11]
	s_delay_alu instid0(SALU_CYCLE_1)
	s_mul_hi_u32 s27, s10, s23
	s_mul_i32 s26, s10, s23
	s_mul_hi_u32 s8, s10, s22
	s_mul_i32 s28, s11, s22
	s_add_nc_u64 s[26:27], s[8:9], s[26:27]
	s_mul_hi_u32 s21, s11, s22
	s_mul_hi_u32 s29, s11, s23
	s_add_co_u32 s8, s26, s28
	s_add_co_ci_u32 s8, s27, s21
	s_mul_i32 s22, s11, s23
	s_add_co_ci_u32 s23, s29, 0
	s_delay_alu instid0(SALU_CYCLE_1) | instskip(NEXT) | instid1(SALU_CYCLE_1)
	s_add_nc_u64 s[22:23], s[8:9], s[22:23]
	s_add_co_u32 s21, s10, s22
	s_cselect_b32 s8, -1, 0
	s_delay_alu instid0(SALU_CYCLE_1) | instskip(SKIP_2) | instid1(SALU_CYCLE_1)
	s_cmp_lg_u32 s8, 0
	s_add_co_ci_u32 s28, s11, s23
	s_ashr_i32 s10, s17, 31
	s_mov_b32 s11, s10
	s_delay_alu instid0(SALU_CYCLE_1) | instskip(NEXT) | instid1(SALU_CYCLE_1)
	s_add_nc_u64 s[22:23], s[16:17], s[10:11]
	s_xor_b64 s[22:23], s[22:23], s[10:11]
	s_delay_alu instid0(SALU_CYCLE_1)
	s_mul_hi_u32 s27, s22, s28
	s_mul_i32 s26, s22, s28
	s_mul_hi_u32 s8, s22, s21
	s_mul_hi_u32 s29, s23, s21
	s_mul_i32 s21, s23, s21
	s_add_nc_u64 s[26:27], s[8:9], s[26:27]
	s_mul_hi_u32 s17, s23, s28
	s_add_co_u32 s8, s26, s21
	s_add_co_ci_u32 s8, s27, s29
	s_mul_i32 s28, s23, s28
	s_add_co_ci_u32 s29, s17, 0
	s_delay_alu instid0(SALU_CYCLE_1) | instskip(NEXT) | instid1(SALU_CYCLE_1)
	s_add_nc_u64 s[26:27], s[8:9], s[28:29]
	s_and_b64 s[28:29], s[26:27], 0xffffffff00000000
	s_delay_alu instid0(SALU_CYCLE_1) | instskip(NEXT) | instid1(SALU_CYCLE_1)
	s_or_b32 s28, s28, s26
	s_mul_u64 s[26:27], s[6:7], s[28:29]
	s_add_nc_u64 s[30:31], s[28:29], 1
	s_sub_co_u32 s8, s22, s26
	s_cselect_b32 s17, -1, 0
	s_sub_co_i32 s21, s23, s27
	s_cmp_lg_u32 s17, 0
	s_add_nc_u64 s[34:35], s[28:29], 2
	s_sub_co_ci_u32 s21, s21, s7
	s_sub_co_u32 s22, s8, s6
	s_cselect_b32 s26, -1, 0
	s_delay_alu instid0(SALU_CYCLE_1) | instskip(SKIP_1) | instid1(SALU_CYCLE_1)
	s_cmp_lg_u32 s26, 0
	s_sub_co_ci_u32 s21, s21, 0
	s_cmp_ge_u32 s21, s7
	s_cselect_b32 s26, -1, 0
	s_cmp_ge_u32 s22, s6
	s_cselect_b32 s22, -1, 0
	s_cmp_eq_u32 s21, s7
	s_cselect_b32 s21, s22, s26
	s_delay_alu instid0(SALU_CYCLE_1) | instskip(SKIP_4) | instid1(SALU_CYCLE_1)
	s_cmp_lg_u32 s21, 0
	s_cselect_b32 s21, s34, s30
	s_cselect_b32 s22, s35, s31
	s_cmp_lg_u32 s17, 0
	s_sub_co_ci_u32 s17, s23, s27
	s_cmp_ge_u32 s17, s7
	s_cselect_b32 s23, -1, 0
	s_cmp_ge_u32 s8, s6
	s_cselect_b32 s6, -1, 0
	s_cmp_eq_u32 s17, s7
	s_cselect_b32 s6, s6, s23
	s_delay_alu instid0(SALU_CYCLE_1) | instskip(SKIP_3) | instid1(SALU_CYCLE_1)
	s_cmp_lg_u32 s6, 0
	s_cselect_b32 s7, s22, s29
	s_cselect_b32 s6, s21, s28
	s_xor_b64 s[4:5], s[10:11], s[4:5]
	s_xor_b64 s[6:7], s[6:7], s[4:5]
	s_delay_alu instid0(SALU_CYCLE_1)
	s_sub_nc_u64 s[26:27], s[6:7], s[4:5]
	s_cbranch_execnz .LBB9_7
.LBB9_6:
	v_cvt_f32_u32_e32 v1, s18
	s_sub_co_i32 s5, 0, s18
	s_mov_b32 s27, 0
	s_delay_alu instid0(VALU_DEP_1) | instskip(SKIP_1) | instid1(TRANS32_DEP_1)
	v_rcp_iflag_f32_e32 v1, v1
	v_nop
	v_mul_f32_e32 v1, 0x4f7ffffe, v1
	s_delay_alu instid0(VALU_DEP_1) | instskip(NEXT) | instid1(VALU_DEP_1)
	v_cvt_u32_f32_e32 v1, v1
	v_readfirstlane_b32 s4, v1
	s_mul_i32 s5, s5, s4
	s_delay_alu instid0(SALU_CYCLE_1) | instskip(NEXT) | instid1(SALU_CYCLE_1)
	s_mul_hi_u32 s5, s4, s5
	s_add_co_i32 s4, s4, s5
	s_delay_alu instid0(SALU_CYCLE_1) | instskip(NEXT) | instid1(SALU_CYCLE_1)
	s_mul_hi_u32 s4, s16, s4
	s_mul_i32 s5, s4, s18
	s_add_co_i32 s6, s4, 1
	s_sub_co_i32 s5, s16, s5
	s_delay_alu instid0(SALU_CYCLE_1)
	s_sub_co_i32 s7, s5, s18
	s_cmp_ge_u32 s5, s18
	s_cselect_b32 s4, s6, s4
	s_cselect_b32 s5, s7, s5
	s_add_co_i32 s6, s4, 1
	s_cmp_ge_u32 s5, s18
	s_cselect_b32 s26, s6, s4
.LBB9_7:
	v_cmp_lt_i64_e64 s4, s[18:19], 1
	s_and_b32 vcc_lo, exec_lo, s4
	s_cbranch_vccnz .LBB9_65
; %bb.8:
	s_bfe_u32 s16, ttmp6, 0x40010
	s_load_b256 s[4:11], s[0:1], 0x40
	s_add_co_i32 s16, s16, 1
	s_bfe_u32 s17, ttmp6, 0x40004
	s_mul_i32 s16, ttmp7, s16
	v_bfe_u32 v14, v0, 10, 10
	s_add_co_i32 s17, s17, s16
	s_cmp_eq_u32 s20, 0
	s_clause 0x1
	s_load_b32 s31, s[0:1], 0x60
	s_load_b128 s[20:23], s[0:1], 0x78
	v_dual_mov_b32 v15, 0 :: v_dual_lshlrev_b32 v12, 4, v14
	s_cselect_b32 s16, ttmp7, s17
	s_mov_b32 s17, 0
	s_lshl_b32 s16, s16, 5
	s_load_b96 s[28:30], s[0:1], 0x0
	v_add_nc_u64_e32 v[16:17], s[16:17], v[14:15]
	s_wait_loadcnt_dscnt 0x0
	v_cmp_neq_f64_e32 vcc_lo, 0, v[6:7]
	s_wait_xcnt 0x0
	v_cmp_neq_f64_e64 s1, 0, v[8:9]
	v_and_b32_e32 v0, 0x3ff, v0
	v_dual_mov_b32 v13, v15 :: v_dual_mov_b32 v1, v15
	v_mov_b32_e32 v19, v15
	s_wait_kmcnt 0x0
	v_mul_u64_e32 v[10:11], s[10:11], v[16:17]
	v_lshlrev_b32_e32 v18, 4, v0
	s_mov_b32 s16, s25
	v_add_nc_u64_e32 v[22:23], s[6:7], v[12:13]
	v_lshlrev_b32_e32 v28, 9, v14
	v_cmp_gt_i64_e64 s0, s[14:15], v[16:17]
	v_mul_u64_e32 v[20:21], s[22:23], v[16:17]
	v_add_nc_u64_e32 v[12:13], s[8:9], v[18:19]
	v_or_b32_e32 v29, 0x4000, v18
	v_cmp_gt_i64_e64 s43, s[26:27], 0
	v_lshl_add_u64 v[26:27], v[16:17], 4, s[8:9]
	v_add_nc_u32_e32 v19, 0x4000, v28
	s_cmp_eq_u32 s29, 0x6f
	v_dual_add_nc_u32 v48, v29, v28 :: v_dual_add_nc_u32 v49, v18, v28
	s_cselect_b32 s44, -1, 0
	s_cmp_lg_u32 s31, 1
	s_mul_u64 s[34:35], s[18:19], s[2:3]
	s_cselect_b32 s45, -1, 0
	s_cmp_lg_u32 s30, 0
	s_mul_u64 s[36:37], s[18:19], s[18:19]
	s_cselect_b32 s30, -1, 0
	s_cmp_eq_u32 s29, 0x71
	s_mov_b64 s[38:39], 0
	s_cselect_b32 s25, -1, 0
	s_cmp_lg_u32 s29, 0x71
	s_cselect_b32 s29, -1, 0
	s_cmp_lg_u32 s28, 0x71
	s_cselect_b32 s28, -1, 0
	s_delay_alu instid0(SALU_CYCLE_1)
	s_and_b32 s14, s28, s25
	s_or_b32 s31, s28, s29
	s_or_b32 s33, s28, s25
	s_xor_b32 s40, s14, -1
	s_cmp_lg_u32 s24, 1
	v_lshl_add_u64 v[24:25], v[10:11], 4, v[12:13]
	s_cselect_b32 s41, -1, 0
	s_xor_b32 s8, s44, s45
	s_and_b32 s42, s42, s0
	s_or_b32 s44, vcc_lo, s1
	s_xor_b32 s45, s8, -1
	s_branch .LBB9_10
.LBB9_9:                                ;   in Loop: Header=BB9_10 Depth=1
	s_wait_xcnt 0x0
	s_or_b32 exec_lo, exec_lo, s1
	s_add_nc_u64 s[38:39], s[38:39], 32
	s_delay_alu instid0(SALU_CYCLE_1)
	v_cmp_lt_i64_e64 s1, s[38:39], s[18:19]
	s_and_b32 vcc_lo, exec_lo, s1
	s_cbranch_vccz .LBB9_65
.LBB9_10:                               ; =>This Loop Header: Depth=1
                                        ;     Child Loop BB9_13 Depth 2
                                        ;       Child Loop BB9_17 Depth 3
                                        ;         Child Loop BB9_38 Depth 4
                                        ;         Child Loop BB9_42 Depth 4
	;; [unrolled: 1-line block ×4, first 2 shown]
	v_add_nc_u64_e32 v[28:29], s[38:39], v[0:1]
	s_and_not1_b32 vcc_lo, exec_lo, s43
	s_delay_alu instid0(VALU_DEP_1)
	v_cmp_gt_i64_e64 s1, s[18:19], v[28:29]
	s_cbranch_vccnz .LBB9_55
; %bb.11:                               ;   in Loop: Header=BB9_10 Depth=1
	v_mul_u64_e32 v[10:11], s[18:19], v[28:29]
	v_mov_b64_e32 v[40:41], 0
	v_mov_b64_e32 v[34:35], 0
	v_lshl_add_u64 v[30:31], v[28:29], 4, s[6:7]
	s_mov_b64 s[8:9], 0
	s_delay_alu instid0(VALU_DEP_4)
	v_lshl_add_u64 v[32:33], v[10:11], 4, v[22:23]
	s_branch .LBB9_13
.LBB9_12:                               ;   in Loop: Header=BB9_13 Depth=2
	s_add_nc_u64 s[8:9], s[8:9], 1
	s_delay_alu instid0(SALU_CYCLE_1)
	s_cmp_eq_u64 s[8:9], s[26:27]
	s_cbranch_scc1 .LBB9_56
.LBB9_13:                               ;   Parent Loop BB9_10 Depth=1
                                        ; =>  This Loop Header: Depth=2
                                        ;       Child Loop BB9_17 Depth 3
                                        ;         Child Loop BB9_38 Depth 4
                                        ;         Child Loop BB9_42 Depth 4
	;; [unrolled: 1-line block ×4, first 2 shown]
	s_mul_u64 s[14:15], s[8:9], s[12:13]
	s_delay_alu instid0(SALU_CYCLE_1) | instskip(NEXT) | instid1(SALU_CYCLE_1)
	s_add_nc_u64 s[14:15], s[14:15], s[2:3]
	s_lshl_b64 s[24:25], s[14:15], 3
	s_mul_u64 s[14:15], s[36:37], s[14:15]
	s_add_nc_u64 s[24:25], s[4:5], s[24:25]
	s_lshl_b64 s[28:29], s[14:15], 4
	s_load_b64 s[24:25], s[24:25], 0x0
	v_add_nc_u64_e32 v[36:37], s[28:29], v[30:31]
	v_add_nc_u64_e32 v[38:39], s[28:29], v[32:33]
	s_wait_kmcnt 0x0
	s_wait_xcnt 0x0
	s_sub_nc_u64 s[24:25], s[24:25], s[16:17]
	s_delay_alu instid0(SALU_CYCLE_1)
	s_mul_u64 s[14:15], s[24:25], s[18:19]
	v_cmp_gt_i64_e64 s46, s[24:25], -1
	v_lshl_add_u64 v[42:43], s[14:15], 4, v[24:25]
	s_mov_b64 s[24:25], 0
	s_branch .LBB9_17
.LBB9_14:                               ;   in Loop: Header=BB9_17 Depth=3
	s_delay_alu instid0(VALU_DEP_1) | instskip(NEXT) | instid1(VALU_DEP_3)
	v_mov_b64_e32 v[12:13], v[40:41]
	v_mov_b64_e32 v[10:11], v[34:35]
.LBB9_15:                               ;   in Loop: Header=BB9_17 Depth=3
	s_delay_alu instid0(VALU_DEP_1) | instskip(NEXT) | instid1(VALU_DEP_2)
	v_mov_b64_e32 v[34:35], v[10:11]
	v_mov_b64_e32 v[40:41], v[12:13]
.LBB9_16:                               ;   in Loop: Header=BB9_17 Depth=3
	s_add_nc_u64 s[24:25], s[24:25], 32
	s_delay_alu instid0(SALU_CYCLE_1)
	v_cmp_ge_i64_e64 s28, s[24:25], s[18:19]
	s_barrier_signal -1
	s_barrier_wait -1
	s_and_b32 vcc_lo, exec_lo, s28
	s_cbranch_vccnz .LBB9_12
.LBB9_17:                               ;   Parent Loop BB9_10 Depth=1
                                        ;     Parent Loop BB9_13 Depth=2
                                        ; =>    This Loop Header: Depth=3
                                        ;         Child Loop BB9_38 Depth 4
                                        ;         Child Loop BB9_42 Depth 4
	;; [unrolled: 1-line block ×4, first 2 shown]
	v_add_nc_u64_e32 v[10:11], s[24:25], v[0:1]
	s_delay_alu instid0(VALU_DEP_1)
	v_cmp_gt_i64_e32 vcc_lo, s[18:19], v[10:11]
	s_and_b32 s28, s0, vcc_lo
	s_and_b32 vcc_lo, exec_lo, s45
	s_and_b32 s29, s28, s46
	s_cbranch_vccz .LBB9_21
; %bb.18:                               ;   in Loop: Header=BB9_17 Depth=3
	s_mov_b32 s47, 0
	s_mov_b32 s28, 0
                                        ; implicit-def: $vgpr44_vgpr45
	s_and_saveexec_b32 s48, s29
	s_delay_alu instid0(SALU_CYCLE_1)
	s_xor_b32 s48, exec_lo, s48
	s_cbranch_execz .LBB9_20
; %bb.19:                               ;   in Loop: Header=BB9_17 Depth=3
	v_add_nc_u64_e32 v[10:11], s[14:15], v[10:11]
	s_mov_b32 s28, exec_lo
	s_delay_alu instid0(VALU_DEP_1) | instskip(NEXT) | instid1(VALU_DEP_1)
	v_mul_u64_e32 v[10:11], s[10:11], v[10:11]
	v_lshl_add_u64 v[44:45], v[10:11], 4, v[26:27]
.LBB9_20:                               ;   in Loop: Header=BB9_17 Depth=3
	s_or_b32 exec_lo, exec_lo, s48
	s_delay_alu instid0(SALU_CYCLE_1)
	s_and_b32 vcc_lo, exec_lo, s47
	s_cbranch_vccnz .LBB9_22
	s_branch .LBB9_25
.LBB9_21:                               ;   in Loop: Header=BB9_17 Depth=3
	s_mov_b32 s28, 0
                                        ; implicit-def: $vgpr44_vgpr45
	s_cbranch_execz .LBB9_25
.LBB9_22:                               ;   in Loop: Header=BB9_17 Depth=3
                                        ; implicit-def: $vgpr44_vgpr45
	s_and_saveexec_b32 s47, s29
; %bb.23:                               ;   in Loop: Header=BB9_17 Depth=3
	v_lshl_add_u64 v[44:45], s[24:25], 4, v[42:43]
	s_or_b32 s28, s28, exec_lo
; %bb.24:                               ;   in Loop: Header=BB9_17 Depth=3
	s_or_b32 exec_lo, exec_lo, s47
.LBB9_25:                               ;   in Loop: Header=BB9_17 Depth=3
	v_mov_b64_e32 v[10:11], 0
	v_mov_b64_e32 v[12:13], 0
	s_and_saveexec_b32 s29, s28
	s_cbranch_execz .LBB9_27
; %bb.26:                               ;   in Loop: Header=BB9_17 Depth=3
	global_load_b128 v[10:13], v[44:45], off
.LBB9_27:                               ;   in Loop: Header=BB9_17 Depth=3
	s_wait_xcnt 0x0
	s_or_b32 exec_lo, exec_lo, s29
	v_add_nc_u64_e32 v[46:47], s[24:25], v[14:15]
	s_wait_loadcnt 0x0
	ds_store_b128 v48, v[10:13]
	v_cmp_gt_i64_e32 vcc_lo, s[18:19], v[46:47]
	s_and_b32 s28, s1, vcc_lo
	s_and_b32 vcc_lo, exec_lo, s30
	s_and_b32 s29, s28, s46
	s_cbranch_vccz .LBB9_51
; %bb.28:                               ;   in Loop: Header=BB9_17 Depth=3
	s_mov_b32 s47, 0
	s_mov_b32 s28, 0
                                        ; implicit-def: $vgpr44_vgpr45
	s_and_saveexec_b32 s48, s29
	s_delay_alu instid0(SALU_CYCLE_1)
	s_xor_b32 s48, exec_lo, s48
	s_cbranch_execz .LBB9_30
; %bb.29:                               ;   in Loop: Header=BB9_17 Depth=3
	v_mul_u64_e32 v[10:11], s[18:19], v[46:47]
	s_mov_b32 s28, exec_lo
	s_delay_alu instid0(VALU_DEP_1)
	v_lshl_add_u64 v[44:45], v[10:11], 4, v[36:37]
.LBB9_30:                               ;   in Loop: Header=BB9_17 Depth=3
	s_or_b32 exec_lo, exec_lo, s48
	s_delay_alu instid0(SALU_CYCLE_1)
	s_and_b32 vcc_lo, exec_lo, s47
	s_cbranch_vccnz .LBB9_52
.LBB9_31:                               ;   in Loop: Header=BB9_17 Depth=3
	v_mov_b64_e32 v[10:11], 0
	v_mov_b64_e32 v[12:13], 0
	s_and_saveexec_b32 s29, s28
	s_cbranch_execz .LBB9_33
.LBB9_32:                               ;   in Loop: Header=BB9_17 Depth=3
	global_load_b128 v[10:13], v[44:45], off
.LBB9_33:                               ;   in Loop: Header=BB9_17 Depth=3
	s_wait_xcnt 0x0
	s_or_b32 exec_lo, exec_lo, s29
	s_delay_alu instid0(SALU_CYCLE_1)
	s_and_not1_b32 vcc_lo, exec_lo, s46
	s_wait_loadcnt 0x0
	ds_store_b128 v49, v[10:13]
	s_wait_dscnt 0x0
	s_barrier_signal -1
	s_barrier_wait -1
	s_cbranch_vccnz .LBB9_16
; %bb.34:                               ;   in Loop: Header=BB9_17 Depth=3
	s_and_b32 vcc_lo, exec_lo, s31
	s_mov_b32 s28, -1
                                        ; implicit-def: $vgpr12_vgpr13
                                        ; implicit-def: $vgpr10_vgpr11
	s_cbranch_vccz .LBB9_48
; %bb.35:                               ;   in Loop: Header=BB9_17 Depth=3
	s_and_b32 vcc_lo, exec_lo, s40
                                        ; implicit-def: $vgpr12_vgpr13
                                        ; implicit-def: $vgpr10_vgpr11
	s_cbranch_vccz .LBB9_44
; %bb.36:                               ;   in Loop: Header=BB9_17 Depth=3
	s_and_not1_b32 vcc_lo, exec_lo, s33
                                        ; implicit-def: $vgpr12_vgpr13
                                        ; implicit-def: $vgpr10_vgpr11
	s_cbranch_vccnz .LBB9_40
; %bb.37:                               ;   in Loop: Header=BB9_17 Depth=3
	v_mov_b64_e32 v[12:13], v[40:41]
	v_mov_b64_e32 v[10:11], v[34:35]
	v_dual_mov_b32 v44, v19 :: v_dual_mov_b32 v45, v18
	s_mov_b64 s[28:29], 32
.LBB9_38:                               ;   Parent Loop BB9_10 Depth=1
                                        ;     Parent Loop BB9_13 Depth=2
                                        ;       Parent Loop BB9_17 Depth=3
                                        ; =>      This Inner Loop Header: Depth=4
	ds_load_b128 v[50:53], v45
	ds_load_b128 v[54:57], v44
	ds_load_b128 v[58:61], v44 offset:16
	ds_load_b128 v[62:65], v45 offset:512
	s_add_nc_u64 s[28:29], s[28:29], -8
	s_delay_alu instid0(SALU_CYCLE_1) | instskip(SKIP_3) | instid1(VALU_DEP_2)
	s_cmp_lg_u64 s[28:29], 0
	s_wait_dscnt 0x2
	v_fmac_f64_e32 v[10:11], v[50:51], v[54:55]
	v_fmac_f64_e32 v[12:13], v[52:53], v[54:55]
	v_fma_f64 v[10:11], -v[52:53], v[56:57], v[10:11]
	s_delay_alu instid0(VALU_DEP_2) | instskip(SKIP_1) | instid1(VALU_DEP_2)
	v_fmac_f64_e32 v[12:13], v[50:51], v[56:57]
	s_wait_dscnt 0x0
	v_fmac_f64_e32 v[10:11], v[62:63], v[58:59]
	s_delay_alu instid0(VALU_DEP_2) | instskip(NEXT) | instid1(VALU_DEP_2)
	v_fmac_f64_e32 v[12:13], v[64:65], v[58:59]
	v_fma_f64 v[10:11], -v[64:65], v[60:61], v[10:11]
	s_delay_alu instid0(VALU_DEP_2)
	v_fmac_f64_e32 v[12:13], v[62:63], v[60:61]
	ds_load_b128 v[50:53], v45 offset:1024
	ds_load_b128 v[54:57], v44 offset:32
	;; [unrolled: 1-line block ×4, first 2 shown]
	s_wait_dscnt 0x2
	v_fmac_f64_e32 v[10:11], v[50:51], v[54:55]
	v_fmac_f64_e32 v[12:13], v[52:53], v[54:55]
	s_delay_alu instid0(VALU_DEP_2) | instskip(NEXT) | instid1(VALU_DEP_2)
	v_fma_f64 v[10:11], -v[52:53], v[56:57], v[10:11]
	v_fmac_f64_e32 v[12:13], v[50:51], v[56:57]
	s_wait_dscnt 0x0
	s_delay_alu instid0(VALU_DEP_2) | instskip(NEXT) | instid1(VALU_DEP_2)
	v_fmac_f64_e32 v[10:11], v[62:63], v[58:59]
	v_fmac_f64_e32 v[12:13], v[64:65], v[58:59]
	s_delay_alu instid0(VALU_DEP_2) | instskip(NEXT) | instid1(VALU_DEP_2)
	v_fma_f64 v[10:11], -v[64:65], v[60:61], v[10:11]
	v_fmac_f64_e32 v[12:13], v[62:63], v[60:61]
	ds_load_b128 v[50:53], v44 offset:64
	ds_load_b128 v[54:57], v45 offset:2048
	;; [unrolled: 1-line block ×4, first 2 shown]
	s_wait_dscnt 0x2
	v_fmac_f64_e32 v[10:11], v[54:55], v[50:51]
	v_fmac_f64_e32 v[12:13], v[56:57], v[50:51]
	s_delay_alu instid0(VALU_DEP_2) | instskip(NEXT) | instid1(VALU_DEP_2)
	v_fma_f64 v[10:11], -v[56:57], v[52:53], v[10:11]
	v_fmac_f64_e32 v[12:13], v[54:55], v[52:53]
	s_wait_dscnt 0x0
	s_delay_alu instid0(VALU_DEP_2) | instskip(NEXT) | instid1(VALU_DEP_2)
	v_fmac_f64_e32 v[10:11], v[58:59], v[62:63]
	v_fmac_f64_e32 v[12:13], v[60:61], v[62:63]
	s_delay_alu instid0(VALU_DEP_2) | instskip(NEXT) | instid1(VALU_DEP_2)
	v_fma_f64 v[10:11], -v[60:61], v[64:65], v[10:11]
	v_fmac_f64_e32 v[12:13], v[58:59], v[64:65]
	ds_load_b128 v[50:53], v44 offset:96
	ds_load_b128 v[54:57], v45 offset:3072
	;; [unrolled: 1-line block ×4, first 2 shown]
	v_add_nc_u32_e32 v45, 0x1000, v45
	v_add_nc_u32_e32 v44, 0x80, v44
	s_wait_dscnt 0x2
	v_fmac_f64_e32 v[10:11], v[54:55], v[50:51]
	v_fmac_f64_e32 v[12:13], v[56:57], v[50:51]
	s_delay_alu instid0(VALU_DEP_2) | instskip(NEXT) | instid1(VALU_DEP_2)
	v_fma_f64 v[10:11], -v[56:57], v[52:53], v[10:11]
	v_fmac_f64_e32 v[12:13], v[54:55], v[52:53]
	s_wait_dscnt 0x0
	s_delay_alu instid0(VALU_DEP_2) | instskip(NEXT) | instid1(VALU_DEP_2)
	v_fmac_f64_e32 v[10:11], v[58:59], v[62:63]
	v_fmac_f64_e32 v[12:13], v[60:61], v[62:63]
	s_delay_alu instid0(VALU_DEP_2) | instskip(NEXT) | instid1(VALU_DEP_2)
	v_fma_f64 v[10:11], -v[60:61], v[64:65], v[10:11]
	v_fmac_f64_e32 v[12:13], v[58:59], v[64:65]
	s_cbranch_scc1 .LBB9_38
; %bb.39:                               ;   in Loop: Header=BB9_17 Depth=3
	s_mov_b32 s28, 0
.LBB9_40:                               ;   in Loop: Header=BB9_17 Depth=3
	s_delay_alu instid0(SALU_CYCLE_1)
	s_and_b32 vcc_lo, exec_lo, s28
	s_cbranch_vccz .LBB9_43
; %bb.41:                               ;   in Loop: Header=BB9_17 Depth=3
	v_mov_b64_e32 v[12:13], v[40:41]
	v_mov_b64_e32 v[10:11], v[34:35]
	v_dual_mov_b32 v44, v19 :: v_dual_mov_b32 v45, v18
	s_mov_b64 s[28:29], 32
.LBB9_42:                               ;   Parent Loop BB9_10 Depth=1
                                        ;     Parent Loop BB9_13 Depth=2
                                        ;       Parent Loop BB9_17 Depth=3
                                        ; =>      This Inner Loop Header: Depth=4
	ds_load_b128 v[50:53], v45
	ds_load_b128 v[54:57], v44
	ds_load_b128 v[58:61], v44 offset:16
	ds_load_b128 v[62:65], v45 offset:512
	s_add_nc_u64 s[28:29], s[28:29], -8
	s_delay_alu instid0(SALU_CYCLE_1) | instskip(SKIP_3) | instid1(VALU_DEP_2)
	s_cmp_eq_u64 s[28:29], 0
	s_wait_dscnt 0x2
	v_fmac_f64_e32 v[10:11], v[50:51], v[54:55]
	v_fma_f64 v[12:13], -v[52:53], v[54:55], v[12:13]
	v_fmac_f64_e32 v[10:11], v[52:53], v[56:57]
	s_delay_alu instid0(VALU_DEP_2) | instskip(SKIP_1) | instid1(VALU_DEP_2)
	v_fmac_f64_e32 v[12:13], v[50:51], v[56:57]
	s_wait_dscnt 0x0
	v_fmac_f64_e32 v[10:11], v[62:63], v[58:59]
	s_delay_alu instid0(VALU_DEP_2) | instskip(NEXT) | instid1(VALU_DEP_2)
	v_fma_f64 v[12:13], -v[64:65], v[58:59], v[12:13]
	v_fmac_f64_e32 v[10:11], v[64:65], v[60:61]
	s_delay_alu instid0(VALU_DEP_2)
	v_fmac_f64_e32 v[12:13], v[62:63], v[60:61]
	ds_load_b128 v[50:53], v45 offset:1024
	ds_load_b128 v[54:57], v44 offset:32
	;; [unrolled: 1-line block ×4, first 2 shown]
	s_wait_dscnt 0x2
	v_fmac_f64_e32 v[10:11], v[50:51], v[54:55]
	v_fma_f64 v[12:13], -v[52:53], v[54:55], v[12:13]
	s_delay_alu instid0(VALU_DEP_2) | instskip(NEXT) | instid1(VALU_DEP_2)
	v_fmac_f64_e32 v[10:11], v[52:53], v[56:57]
	v_fmac_f64_e32 v[12:13], v[50:51], v[56:57]
	s_wait_dscnt 0x0
	s_delay_alu instid0(VALU_DEP_2) | instskip(NEXT) | instid1(VALU_DEP_2)
	v_fmac_f64_e32 v[10:11], v[62:63], v[58:59]
	v_fma_f64 v[12:13], -v[64:65], v[58:59], v[12:13]
	s_delay_alu instid0(VALU_DEP_2) | instskip(NEXT) | instid1(VALU_DEP_2)
	v_fmac_f64_e32 v[10:11], v[64:65], v[60:61]
	v_fmac_f64_e32 v[12:13], v[62:63], v[60:61]
	ds_load_b128 v[50:53], v44 offset:64
	ds_load_b128 v[54:57], v45 offset:2048
	ds_load_b128 v[58:61], v45 offset:2560
	ds_load_b128 v[62:65], v44 offset:80
	s_wait_dscnt 0x2
	v_fmac_f64_e32 v[10:11], v[54:55], v[50:51]
	v_fma_f64 v[12:13], -v[56:57], v[50:51], v[12:13]
	s_delay_alu instid0(VALU_DEP_2) | instskip(NEXT) | instid1(VALU_DEP_2)
	v_fmac_f64_e32 v[10:11], v[56:57], v[52:53]
	v_fmac_f64_e32 v[12:13], v[54:55], v[52:53]
	s_wait_dscnt 0x0
	s_delay_alu instid0(VALU_DEP_2) | instskip(NEXT) | instid1(VALU_DEP_2)
	v_fmac_f64_e32 v[10:11], v[58:59], v[62:63]
	v_fma_f64 v[12:13], -v[60:61], v[62:63], v[12:13]
	s_delay_alu instid0(VALU_DEP_2) | instskip(NEXT) | instid1(VALU_DEP_2)
	v_fmac_f64_e32 v[10:11], v[60:61], v[64:65]
	v_fmac_f64_e32 v[12:13], v[58:59], v[64:65]
	ds_load_b128 v[50:53], v44 offset:96
	ds_load_b128 v[54:57], v45 offset:3072
	;; [unrolled: 1-line block ×4, first 2 shown]
	v_add_nc_u32_e32 v45, 0x1000, v45
	v_add_nc_u32_e32 v44, 0x80, v44
	s_wait_dscnt 0x2
	v_fmac_f64_e32 v[10:11], v[54:55], v[50:51]
	v_fma_f64 v[12:13], -v[56:57], v[50:51], v[12:13]
	s_delay_alu instid0(VALU_DEP_2) | instskip(NEXT) | instid1(VALU_DEP_2)
	v_fmac_f64_e32 v[10:11], v[56:57], v[52:53]
	v_fmac_f64_e32 v[12:13], v[54:55], v[52:53]
	s_wait_dscnt 0x0
	s_delay_alu instid0(VALU_DEP_2) | instskip(NEXT) | instid1(VALU_DEP_2)
	v_fmac_f64_e32 v[10:11], v[58:59], v[62:63]
	v_fma_f64 v[12:13], -v[60:61], v[62:63], v[12:13]
	s_delay_alu instid0(VALU_DEP_2) | instskip(NEXT) | instid1(VALU_DEP_2)
	v_fmac_f64_e32 v[10:11], v[60:61], v[64:65]
	v_fmac_f64_e32 v[12:13], v[58:59], v[64:65]
	s_cbranch_scc0 .LBB9_42
.LBB9_43:                               ;   in Loop: Header=BB9_17 Depth=3
	s_mov_b32 s28, 0
.LBB9_44:                               ;   in Loop: Header=BB9_17 Depth=3
	s_delay_alu instid0(SALU_CYCLE_1)
	s_and_not1_b32 vcc_lo, exec_lo, s28
	s_cbranch_vccnz .LBB9_47
; %bb.45:                               ;   in Loop: Header=BB9_17 Depth=3
	v_mov_b64_e32 v[12:13], v[40:41]
	v_mov_b64_e32 v[10:11], v[34:35]
	v_dual_mov_b32 v44, v19 :: v_dual_mov_b32 v45, v18
	s_mov_b64 s[28:29], 32
.LBB9_46:                               ;   Parent Loop BB9_10 Depth=1
                                        ;     Parent Loop BB9_13 Depth=2
                                        ;       Parent Loop BB9_17 Depth=3
                                        ; =>      This Inner Loop Header: Depth=4
	ds_load_b128 v[50:53], v45
	ds_load_b128 v[54:57], v44
	ds_load_b128 v[58:61], v44 offset:16
	ds_load_b128 v[62:65], v45 offset:512
	s_add_nc_u64 s[28:29], s[28:29], -8
	s_delay_alu instid0(SALU_CYCLE_1) | instskip(SKIP_3) | instid1(VALU_DEP_2)
	s_cmp_eq_u64 s[28:29], 0
	s_wait_dscnt 0x2
	v_fmac_f64_e32 v[10:11], v[50:51], v[54:55]
	v_fmac_f64_e32 v[12:13], v[52:53], v[54:55]
	;; [unrolled: 1-line block ×3, first 2 shown]
	s_delay_alu instid0(VALU_DEP_2) | instskip(SKIP_1) | instid1(VALU_DEP_2)
	v_fma_f64 v[12:13], v[50:51], -v[56:57], v[12:13]
	s_wait_dscnt 0x0
	v_fmac_f64_e32 v[10:11], v[62:63], v[58:59]
	s_delay_alu instid0(VALU_DEP_2) | instskip(NEXT) | instid1(VALU_DEP_2)
	v_fmac_f64_e32 v[12:13], v[64:65], v[58:59]
	v_fmac_f64_e32 v[10:11], v[64:65], v[60:61]
	s_delay_alu instid0(VALU_DEP_2)
	v_fma_f64 v[12:13], v[62:63], -v[60:61], v[12:13]
	ds_load_b128 v[50:53], v45 offset:1024
	ds_load_b128 v[54:57], v44 offset:32
	;; [unrolled: 1-line block ×4, first 2 shown]
	s_wait_dscnt 0x2
	v_fmac_f64_e32 v[10:11], v[50:51], v[54:55]
	v_fmac_f64_e32 v[12:13], v[52:53], v[54:55]
	s_delay_alu instid0(VALU_DEP_2) | instskip(NEXT) | instid1(VALU_DEP_2)
	v_fmac_f64_e32 v[10:11], v[52:53], v[56:57]
	v_fma_f64 v[12:13], v[50:51], -v[56:57], v[12:13]
	s_wait_dscnt 0x0
	s_delay_alu instid0(VALU_DEP_2) | instskip(NEXT) | instid1(VALU_DEP_2)
	v_fmac_f64_e32 v[10:11], v[62:63], v[58:59]
	v_fmac_f64_e32 v[12:13], v[64:65], v[58:59]
	s_delay_alu instid0(VALU_DEP_2) | instskip(NEXT) | instid1(VALU_DEP_2)
	v_fmac_f64_e32 v[10:11], v[64:65], v[60:61]
	v_fma_f64 v[12:13], v[62:63], -v[60:61], v[12:13]
	ds_load_b128 v[50:53], v44 offset:64
	ds_load_b128 v[54:57], v45 offset:2048
	;; [unrolled: 1-line block ×4, first 2 shown]
	s_wait_dscnt 0x2
	v_fmac_f64_e32 v[10:11], v[54:55], v[50:51]
	v_fmac_f64_e32 v[12:13], v[56:57], v[50:51]
	s_delay_alu instid0(VALU_DEP_2) | instskip(NEXT) | instid1(VALU_DEP_2)
	v_fmac_f64_e32 v[10:11], v[56:57], v[52:53]
	v_fma_f64 v[12:13], v[54:55], -v[52:53], v[12:13]
	s_wait_dscnt 0x0
	s_delay_alu instid0(VALU_DEP_2) | instskip(NEXT) | instid1(VALU_DEP_2)
	v_fmac_f64_e32 v[10:11], v[58:59], v[62:63]
	v_fmac_f64_e32 v[12:13], v[60:61], v[62:63]
	s_delay_alu instid0(VALU_DEP_2) | instskip(NEXT) | instid1(VALU_DEP_2)
	v_fmac_f64_e32 v[10:11], v[60:61], v[64:65]
	v_fma_f64 v[12:13], v[58:59], -v[64:65], v[12:13]
	ds_load_b128 v[50:53], v44 offset:96
	ds_load_b128 v[54:57], v45 offset:3072
	;; [unrolled: 1-line block ×4, first 2 shown]
	v_add_nc_u32_e32 v45, 0x1000, v45
	v_add_nc_u32_e32 v44, 0x80, v44
	s_wait_dscnt 0x2
	v_fmac_f64_e32 v[10:11], v[54:55], v[50:51]
	v_fmac_f64_e32 v[12:13], v[56:57], v[50:51]
	s_delay_alu instid0(VALU_DEP_2) | instskip(NEXT) | instid1(VALU_DEP_2)
	v_fmac_f64_e32 v[10:11], v[56:57], v[52:53]
	v_fma_f64 v[12:13], v[54:55], -v[52:53], v[12:13]
	s_wait_dscnt 0x0
	s_delay_alu instid0(VALU_DEP_2) | instskip(NEXT) | instid1(VALU_DEP_2)
	v_fmac_f64_e32 v[10:11], v[58:59], v[62:63]
	v_fmac_f64_e32 v[12:13], v[60:61], v[62:63]
	s_delay_alu instid0(VALU_DEP_2) | instskip(NEXT) | instid1(VALU_DEP_2)
	v_fmac_f64_e32 v[10:11], v[60:61], v[64:65]
	v_fma_f64 v[12:13], v[58:59], -v[64:65], v[12:13]
	s_cbranch_scc0 .LBB9_46
.LBB9_47:                               ;   in Loop: Header=BB9_17 Depth=3
	s_mov_b32 s28, 0
.LBB9_48:                               ;   in Loop: Header=BB9_17 Depth=3
	s_delay_alu instid0(SALU_CYCLE_1)
	s_and_not1_b32 vcc_lo, exec_lo, s28
	s_cbranch_vccnz .LBB9_15
; %bb.49:                               ;   in Loop: Header=BB9_17 Depth=3
	v_dual_mov_b32 v10, v19 :: v_dual_mov_b32 v11, v18
	s_mov_b64 s[28:29], 32
.LBB9_50:                               ;   Parent Loop BB9_10 Depth=1
                                        ;     Parent Loop BB9_13 Depth=2
                                        ;       Parent Loop BB9_17 Depth=3
                                        ; =>      This Inner Loop Header: Depth=4
	ds_load_b128 v[44:47], v11
	ds_load_b128 v[50:53], v10
	ds_load_b128 v[54:57], v10 offset:16
	ds_load_b128 v[58:61], v11 offset:512
	s_add_nc_u64 s[28:29], s[28:29], -8
	s_delay_alu instid0(SALU_CYCLE_1) | instskip(SKIP_3) | instid1(VALU_DEP_2)
	s_cmp_eq_u64 s[28:29], 0
	s_wait_dscnt 0x2
	v_fmac_f64_e32 v[34:35], v[44:45], v[50:51]
	v_fma_f64 v[12:13], -v[46:47], v[50:51], v[40:41]
	v_fma_f64 v[34:35], v[46:47], -v[52:53], v[34:35]
	s_delay_alu instid0(VALU_DEP_2) | instskip(SKIP_1) | instid1(VALU_DEP_2)
	v_fma_f64 v[12:13], v[44:45], -v[52:53], v[12:13]
	s_wait_dscnt 0x0
	v_fmac_f64_e32 v[34:35], v[58:59], v[54:55]
	s_delay_alu instid0(VALU_DEP_2) | instskip(NEXT) | instid1(VALU_DEP_2)
	v_fma_f64 v[12:13], -v[60:61], v[54:55], v[12:13]
	v_fma_f64 v[34:35], v[60:61], -v[56:57], v[34:35]
	s_delay_alu instid0(VALU_DEP_2)
	v_fma_f64 v[12:13], v[58:59], -v[56:57], v[12:13]
	ds_load_b128 v[44:47], v11 offset:1024
	ds_load_b128 v[50:53], v10 offset:32
	;; [unrolled: 1-line block ×4, first 2 shown]
	s_wait_dscnt 0x2
	v_fmac_f64_e32 v[34:35], v[44:45], v[50:51]
	v_fma_f64 v[12:13], -v[46:47], v[50:51], v[12:13]
	s_delay_alu instid0(VALU_DEP_2) | instskip(NEXT) | instid1(VALU_DEP_2)
	v_fma_f64 v[34:35], v[46:47], -v[52:53], v[34:35]
	v_fma_f64 v[12:13], v[44:45], -v[52:53], v[12:13]
	s_wait_dscnt 0x0
	s_delay_alu instid0(VALU_DEP_2) | instskip(NEXT) | instid1(VALU_DEP_2)
	v_fmac_f64_e32 v[34:35], v[58:59], v[54:55]
	v_fma_f64 v[12:13], -v[60:61], v[54:55], v[12:13]
	s_delay_alu instid0(VALU_DEP_2) | instskip(NEXT) | instid1(VALU_DEP_2)
	v_fma_f64 v[34:35], v[60:61], -v[56:57], v[34:35]
	v_fma_f64 v[12:13], v[58:59], -v[56:57], v[12:13]
	ds_load_b128 v[44:47], v10 offset:64
	ds_load_b128 v[50:53], v11 offset:2048
	;; [unrolled: 1-line block ×4, first 2 shown]
	s_wait_dscnt 0x2
	v_fmac_f64_e32 v[34:35], v[50:51], v[44:45]
	v_fma_f64 v[12:13], -v[52:53], v[44:45], v[12:13]
	s_delay_alu instid0(VALU_DEP_2) | instskip(NEXT) | instid1(VALU_DEP_2)
	v_fma_f64 v[34:35], v[52:53], -v[46:47], v[34:35]
	v_fma_f64 v[12:13], v[50:51], -v[46:47], v[12:13]
	s_wait_dscnt 0x0
	s_delay_alu instid0(VALU_DEP_2) | instskip(NEXT) | instid1(VALU_DEP_2)
	v_fmac_f64_e32 v[34:35], v[54:55], v[58:59]
	v_fma_f64 v[12:13], -v[56:57], v[58:59], v[12:13]
	s_delay_alu instid0(VALU_DEP_2) | instskip(NEXT) | instid1(VALU_DEP_2)
	v_fma_f64 v[34:35], v[56:57], -v[60:61], v[34:35]
	v_fma_f64 v[12:13], v[54:55], -v[60:61], v[12:13]
	ds_load_b128 v[44:47], v10 offset:96
	ds_load_b128 v[50:53], v11 offset:3072
	;; [unrolled: 1-line block ×4, first 2 shown]
	v_add_nc_u32_e32 v11, 0x1000, v11
	v_add_nc_u32_e32 v10, 0x80, v10
	s_wait_dscnt 0x2
	v_fmac_f64_e32 v[34:35], v[50:51], v[44:45]
	v_fma_f64 v[12:13], -v[52:53], v[44:45], v[12:13]
	s_delay_alu instid0(VALU_DEP_2) | instskip(NEXT) | instid1(VALU_DEP_2)
	v_fma_f64 v[34:35], v[52:53], -v[46:47], v[34:35]
	v_fma_f64 v[12:13], v[50:51], -v[46:47], v[12:13]
	s_wait_dscnt 0x0
	s_delay_alu instid0(VALU_DEP_2) | instskip(NEXT) | instid1(VALU_DEP_2)
	v_fmac_f64_e32 v[34:35], v[54:55], v[58:59]
	v_fma_f64 v[12:13], -v[56:57], v[58:59], v[12:13]
	s_delay_alu instid0(VALU_DEP_2) | instskip(NEXT) | instid1(VALU_DEP_2)
	v_fma_f64 v[34:35], v[56:57], -v[60:61], v[34:35]
	v_fma_f64 v[40:41], v[54:55], -v[60:61], v[12:13]
	s_cbranch_scc0 .LBB9_50
	s_branch .LBB9_14
.LBB9_51:                               ;   in Loop: Header=BB9_17 Depth=3
	s_mov_b32 s28, 0
                                        ; implicit-def: $vgpr44_vgpr45
	s_cbranch_execz .LBB9_31
.LBB9_52:                               ;   in Loop: Header=BB9_17 Depth=3
                                        ; implicit-def: $vgpr44_vgpr45
	s_and_saveexec_b32 s47, s29
; %bb.53:                               ;   in Loop: Header=BB9_17 Depth=3
	v_lshl_add_u64 v[44:45], s[24:25], 4, v[38:39]
	s_or_b32 s28, s28, exec_lo
; %bb.54:                               ;   in Loop: Header=BB9_17 Depth=3
	s_or_b32 exec_lo, exec_lo, s47
	v_mov_b64_e32 v[10:11], 0
	v_mov_b64_e32 v[12:13], 0
	s_and_saveexec_b32 s29, s28
	s_cbranch_execnz .LBB9_32
	s_branch .LBB9_33
.LBB9_55:                               ;   in Loop: Header=BB9_10 Depth=1
	v_mov_b64_e32 v[40:41], 0
	v_mov_b64_e32 v[34:35], 0
.LBB9_56:                               ;   in Loop: Header=BB9_10 Depth=1
	v_add_nc_u64_e32 v[12:13], s[34:35], v[28:29]
	s_and_b32 vcc_lo, exec_lo, s41
	s_mov_b32 s1, -1
                                        ; implicit-def: $vgpr10_vgpr11
	s_cbranch_vccnz .LBB9_59
; %bb.57:                               ;   in Loop: Header=BB9_10 Depth=1
	s_and_not1_b32 vcc_lo, exec_lo, s1
	s_cbranch_vccz .LBB9_60
.LBB9_58:                               ;   in Loop: Header=BB9_10 Depth=1
	v_cmp_gt_i64_e32 vcc_lo, s[18:19], v[28:29]
	s_and_b32 s8, s42, vcc_lo
	s_delay_alu instid0(SALU_CYCLE_1)
	s_and_saveexec_b32 s1, s8
	s_cbranch_execz .LBB9_9
	s_branch .LBB9_61
.LBB9_59:                               ;   in Loop: Header=BB9_10 Depth=1
	s_delay_alu instid0(VALU_DEP_1) | instskip(NEXT) | instid1(VALU_DEP_1)
	v_mad_nc_u64_u32 v[10:11], v12, s22, v[16:17]
	v_mad_u32 v11, v13, s22, v11
	s_delay_alu instid0(VALU_DEP_1)
	v_mad_u32 v11, v12, s23, v11
	s_cbranch_execnz .LBB9_58
.LBB9_60:                               ;   in Loop: Header=BB9_10 Depth=1
	s_delay_alu instid0(VALU_DEP_1) | instskip(SKIP_2) | instid1(SALU_CYCLE_1)
	v_add_nc_u64_e32 v[10:11], v[12:13], v[20:21]
	v_cmp_gt_i64_e32 vcc_lo, s[18:19], v[28:29]
	s_and_b32 s8, s42, vcc_lo
	s_and_saveexec_b32 s1, s8
	s_cbranch_execz .LBB9_9
.LBB9_61:                               ;   in Loop: Header=BB9_10 Depth=1
	s_and_saveexec_b32 s8, s44
	s_delay_alu instid0(SALU_CYCLE_1)
	s_xor_b32 s8, exec_lo, s8
	s_cbranch_execz .LBB9_63
; %bb.62:                               ;   in Loop: Header=BB9_10 Depth=1
	s_delay_alu instid0(VALU_DEP_2)
	v_lshl_add_u64 v[32:33], v[10:11], 4, s[20:21]
	v_mul_f64_e64 v[28:29], v[40:41], -v[4:5]
	v_mul_f64_e32 v[30:31], v[2:3], v[40:41]
                                        ; implicit-def: $vgpr40_vgpr41
	global_load_b128 v[10:13], v[32:33], off
	v_fmac_f64_e32 v[28:29], v[2:3], v[34:35]
	v_fmac_f64_e32 v[30:31], v[4:5], v[34:35]
                                        ; implicit-def: $vgpr34_vgpr35
	s_wait_loadcnt 0x0
	s_delay_alu instid0(VALU_DEP_2) | instskip(NEXT) | instid1(VALU_DEP_2)
	v_fmac_f64_e32 v[28:29], v[6:7], v[10:11]
	v_fmac_f64_e32 v[30:31], v[8:9], v[10:11]
                                        ; implicit-def: $vgpr10_vgpr11
	s_delay_alu instid0(VALU_DEP_2) | instskip(NEXT) | instid1(VALU_DEP_2)
	v_fma_f64 v[28:29], -v[8:9], v[12:13], v[28:29]
	v_fmac_f64_e32 v[30:31], v[6:7], v[12:13]
	global_store_b128 v[32:33], v[28:31], off
.LBB9_63:                               ;   in Loop: Header=BB9_10 Depth=1
	s_wait_xcnt 0x0
	s_and_not1_saveexec_b32 s8, s8
	s_cbranch_execz .LBB9_9
; %bb.64:                               ;   in Loop: Header=BB9_10 Depth=1
	v_mul_f64_e64 v[28:29], v[40:41], -v[4:5]
	v_mul_f64_e32 v[30:31], v[2:3], v[40:41]
	v_lshl_add_u64 v[10:11], v[10:11], 4, s[20:21]
	s_delay_alu instid0(VALU_DEP_3) | instskip(NEXT) | instid1(VALU_DEP_3)
	v_fmac_f64_e32 v[28:29], v[2:3], v[34:35]
	v_fmac_f64_e32 v[30:31], v[4:5], v[34:35]
	global_store_b128 v[10:11], v[28:31], off
	s_branch .LBB9_9
.LBB9_65:
	s_sendmsg sendmsg(MSG_DEALLOC_VGPRS)
	s_endpgm
.LBB9_66:
                                        ; implicit-def: $sgpr26_sgpr27
	s_branch .LBB9_6
	.section	.rodata,"a",@progbits
	.p2align	6, 0x0
	.amdhsa_kernel _ZN9rocsparseL30bellmm_general_blockdim_kernelILi32ELi32E21rocsparse_complex_numIdElS2_S2_S2_EEv20rocsparse_operation_S3_20rocsparse_direction_T2_S5_NS_24const_host_device_scalarIT1_EES5_S5_PKS5_PKT3_PKT4_l16rocsparse_order_S8_PT5_lSH_21rocsparse_index_base_b
		.amdhsa_group_segment_fixed_size 32768
		.amdhsa_private_segment_fixed_size 0
		.amdhsa_kernarg_size 148
		.amdhsa_user_sgpr_count 2
		.amdhsa_user_sgpr_dispatch_ptr 0
		.amdhsa_user_sgpr_queue_ptr 0
		.amdhsa_user_sgpr_kernarg_segment_ptr 1
		.amdhsa_user_sgpr_dispatch_id 0
		.amdhsa_user_sgpr_kernarg_preload_length 0
		.amdhsa_user_sgpr_kernarg_preload_offset 0
		.amdhsa_user_sgpr_private_segment_size 0
		.amdhsa_wavefront_size32 1
		.amdhsa_uses_dynamic_stack 0
		.amdhsa_enable_private_segment 0
		.amdhsa_system_sgpr_workgroup_id_x 1
		.amdhsa_system_sgpr_workgroup_id_y 1
		.amdhsa_system_sgpr_workgroup_id_z 0
		.amdhsa_system_sgpr_workgroup_info 0
		.amdhsa_system_vgpr_workitem_id 1
		.amdhsa_next_free_vgpr 66
		.amdhsa_next_free_sgpr 49
		.amdhsa_named_barrier_count 0
		.amdhsa_reserve_vcc 1
		.amdhsa_float_round_mode_32 0
		.amdhsa_float_round_mode_16_64 0
		.amdhsa_float_denorm_mode_32 3
		.amdhsa_float_denorm_mode_16_64 3
		.amdhsa_fp16_overflow 0
		.amdhsa_memory_ordered 1
		.amdhsa_forward_progress 1
		.amdhsa_inst_pref_size 32
		.amdhsa_round_robin_scheduling 0
		.amdhsa_exception_fp_ieee_invalid_op 0
		.amdhsa_exception_fp_denorm_src 0
		.amdhsa_exception_fp_ieee_div_zero 0
		.amdhsa_exception_fp_ieee_overflow 0
		.amdhsa_exception_fp_ieee_underflow 0
		.amdhsa_exception_fp_ieee_inexact 0
		.amdhsa_exception_int_div_zero 0
	.end_amdhsa_kernel
	.section	.text._ZN9rocsparseL30bellmm_general_blockdim_kernelILi32ELi32E21rocsparse_complex_numIdElS2_S2_S2_EEv20rocsparse_operation_S3_20rocsparse_direction_T2_S5_NS_24const_host_device_scalarIT1_EES5_S5_PKS5_PKT3_PKT4_l16rocsparse_order_S8_PT5_lSH_21rocsparse_index_base_b,"axG",@progbits,_ZN9rocsparseL30bellmm_general_blockdim_kernelILi32ELi32E21rocsparse_complex_numIdElS2_S2_S2_EEv20rocsparse_operation_S3_20rocsparse_direction_T2_S5_NS_24const_host_device_scalarIT1_EES5_S5_PKS5_PKT3_PKT4_l16rocsparse_order_S8_PT5_lSH_21rocsparse_index_base_b,comdat
.Lfunc_end9:
	.size	_ZN9rocsparseL30bellmm_general_blockdim_kernelILi32ELi32E21rocsparse_complex_numIdElS2_S2_S2_EEv20rocsparse_operation_S3_20rocsparse_direction_T2_S5_NS_24const_host_device_scalarIT1_EES5_S5_PKS5_PKT3_PKT4_l16rocsparse_order_S8_PT5_lSH_21rocsparse_index_base_b, .Lfunc_end9-_ZN9rocsparseL30bellmm_general_blockdim_kernelILi32ELi32E21rocsparse_complex_numIdElS2_S2_S2_EEv20rocsparse_operation_S3_20rocsparse_direction_T2_S5_NS_24const_host_device_scalarIT1_EES5_S5_PKS5_PKT3_PKT4_l16rocsparse_order_S8_PT5_lSH_21rocsparse_index_base_b
                                        ; -- End function
	.set _ZN9rocsparseL30bellmm_general_blockdim_kernelILi32ELi32E21rocsparse_complex_numIdElS2_S2_S2_EEv20rocsparse_operation_S3_20rocsparse_direction_T2_S5_NS_24const_host_device_scalarIT1_EES5_S5_PKS5_PKT3_PKT4_l16rocsparse_order_S8_PT5_lSH_21rocsparse_index_base_b.num_vgpr, 66
	.set _ZN9rocsparseL30bellmm_general_blockdim_kernelILi32ELi32E21rocsparse_complex_numIdElS2_S2_S2_EEv20rocsparse_operation_S3_20rocsparse_direction_T2_S5_NS_24const_host_device_scalarIT1_EES5_S5_PKS5_PKT3_PKT4_l16rocsparse_order_S8_PT5_lSH_21rocsparse_index_base_b.num_agpr, 0
	.set _ZN9rocsparseL30bellmm_general_blockdim_kernelILi32ELi32E21rocsparse_complex_numIdElS2_S2_S2_EEv20rocsparse_operation_S3_20rocsparse_direction_T2_S5_NS_24const_host_device_scalarIT1_EES5_S5_PKS5_PKT3_PKT4_l16rocsparse_order_S8_PT5_lSH_21rocsparse_index_base_b.numbered_sgpr, 49
	.set _ZN9rocsparseL30bellmm_general_blockdim_kernelILi32ELi32E21rocsparse_complex_numIdElS2_S2_S2_EEv20rocsparse_operation_S3_20rocsparse_direction_T2_S5_NS_24const_host_device_scalarIT1_EES5_S5_PKS5_PKT3_PKT4_l16rocsparse_order_S8_PT5_lSH_21rocsparse_index_base_b.num_named_barrier, 0
	.set _ZN9rocsparseL30bellmm_general_blockdim_kernelILi32ELi32E21rocsparse_complex_numIdElS2_S2_S2_EEv20rocsparse_operation_S3_20rocsparse_direction_T2_S5_NS_24const_host_device_scalarIT1_EES5_S5_PKS5_PKT3_PKT4_l16rocsparse_order_S8_PT5_lSH_21rocsparse_index_base_b.private_seg_size, 0
	.set _ZN9rocsparseL30bellmm_general_blockdim_kernelILi32ELi32E21rocsparse_complex_numIdElS2_S2_S2_EEv20rocsparse_operation_S3_20rocsparse_direction_T2_S5_NS_24const_host_device_scalarIT1_EES5_S5_PKS5_PKT3_PKT4_l16rocsparse_order_S8_PT5_lSH_21rocsparse_index_base_b.uses_vcc, 1
	.set _ZN9rocsparseL30bellmm_general_blockdim_kernelILi32ELi32E21rocsparse_complex_numIdElS2_S2_S2_EEv20rocsparse_operation_S3_20rocsparse_direction_T2_S5_NS_24const_host_device_scalarIT1_EES5_S5_PKS5_PKT3_PKT4_l16rocsparse_order_S8_PT5_lSH_21rocsparse_index_base_b.uses_flat_scratch, 0
	.set _ZN9rocsparseL30bellmm_general_blockdim_kernelILi32ELi32E21rocsparse_complex_numIdElS2_S2_S2_EEv20rocsparse_operation_S3_20rocsparse_direction_T2_S5_NS_24const_host_device_scalarIT1_EES5_S5_PKS5_PKT3_PKT4_l16rocsparse_order_S8_PT5_lSH_21rocsparse_index_base_b.has_dyn_sized_stack, 0
	.set _ZN9rocsparseL30bellmm_general_blockdim_kernelILi32ELi32E21rocsparse_complex_numIdElS2_S2_S2_EEv20rocsparse_operation_S3_20rocsparse_direction_T2_S5_NS_24const_host_device_scalarIT1_EES5_S5_PKS5_PKT3_PKT4_l16rocsparse_order_S8_PT5_lSH_21rocsparse_index_base_b.has_recursion, 0
	.set _ZN9rocsparseL30bellmm_general_blockdim_kernelILi32ELi32E21rocsparse_complex_numIdElS2_S2_S2_EEv20rocsparse_operation_S3_20rocsparse_direction_T2_S5_NS_24const_host_device_scalarIT1_EES5_S5_PKS5_PKT3_PKT4_l16rocsparse_order_S8_PT5_lSH_21rocsparse_index_base_b.has_indirect_call, 0
	.section	.AMDGPU.csdata,"",@progbits
; Kernel info:
; codeLenInByte = 4048
; TotalNumSgprs: 51
; NumVgprs: 66
; ScratchSize: 0
; MemoryBound: 1
; FloatMode: 240
; IeeeMode: 1
; LDSByteSize: 32768 bytes/workgroup (compile time only)
; SGPRBlocks: 0
; VGPRBlocks: 4
; NumSGPRsForWavesPerEU: 51
; NumVGPRsForWavesPerEU: 66
; NamedBarCnt: 0
; Occupancy: 12
; WaveLimiterHint : 1
; COMPUTE_PGM_RSRC2:SCRATCH_EN: 0
; COMPUTE_PGM_RSRC2:USER_SGPR: 2
; COMPUTE_PGM_RSRC2:TRAP_HANDLER: 0
; COMPUTE_PGM_RSRC2:TGID_X_EN: 1
; COMPUTE_PGM_RSRC2:TGID_Y_EN: 1
; COMPUTE_PGM_RSRC2:TGID_Z_EN: 0
; COMPUTE_PGM_RSRC2:TIDIG_COMP_CNT: 1
	.section	.AMDGPU.gpr_maximums,"",@progbits
	.set amdgpu.max_num_vgpr, 0
	.set amdgpu.max_num_agpr, 0
	.set amdgpu.max_num_sgpr, 0
	.section	.AMDGPU.csdata,"",@progbits
	.type	__hip_cuid_22c53a8e288db9f2,@object ; @__hip_cuid_22c53a8e288db9f2
	.section	.bss,"aw",@nobits
	.globl	__hip_cuid_22c53a8e288db9f2
__hip_cuid_22c53a8e288db9f2:
	.byte	0                               ; 0x0
	.size	__hip_cuid_22c53a8e288db9f2, 1

	.ident	"AMD clang version 22.0.0git (https://github.com/RadeonOpenCompute/llvm-project roc-7.2.4 26084 f58b06dce1f9c15707c5f808fd002e18c2accf7e)"
	.section	".note.GNU-stack","",@progbits
	.addrsig
	.addrsig_sym __hip_cuid_22c53a8e288db9f2
	.amdgpu_metadata
---
amdhsa.kernels:
  - .args:
      - .offset:         0
        .size:           4
        .value_kind:     by_value
      - .offset:         4
        .size:           4
        .value_kind:     by_value
      - .offset:         8
        .size:           4
        .value_kind:     by_value
      - .offset:         12
        .size:           4
        .value_kind:     by_value
      - .offset:         16
        .size:           4
        .value_kind:     by_value
      - .offset:         24
        .size:           8
        .value_kind:     by_value
      - .offset:         32
        .size:           4
        .value_kind:     by_value
      - .offset:         36
        .size:           4
        .value_kind:     by_value
      - .actual_access:  read_only
        .address_space:  global
        .offset:         40
        .size:           8
        .value_kind:     global_buffer
      - .actual_access:  read_only
        .address_space:  global
        .offset:         48
        .size:           8
        .value_kind:     global_buffer
      - .actual_access:  read_only
        .address_space:  global
        .offset:         56
        .size:           8
        .value_kind:     global_buffer
      - .offset:         64
        .size:           8
        .value_kind:     by_value
      - .offset:         72
        .size:           4
        .value_kind:     by_value
      - .offset:         80
        .size:           8
        .value_kind:     by_value
      - .address_space:  global
        .offset:         88
        .size:           8
        .value_kind:     global_buffer
      - .offset:         96
        .size:           8
        .value_kind:     by_value
      - .offset:         104
        .size:           4
        .value_kind:     by_value
      - .offset:         108
        .size:           4
        .value_kind:     by_value
      - .offset:         112
        .size:           1
        .value_kind:     by_value
    .group_segment_fixed_size: 8192
    .kernarg_segment_align: 8
    .kernarg_segment_size: 116
    .language:       OpenCL C
    .language_version:
      - 2
      - 0
    .max_flat_workgroup_size: 1024
    .name:           _ZN9rocsparseL30bellmm_general_blockdim_kernelILi32ELi32EiiiiiEEv20rocsparse_operation_S1_20rocsparse_direction_T2_S3_NS_24const_host_device_scalarIT1_EES3_S3_PKS3_PKT3_PKT4_l16rocsparse_order_S6_PT5_lSF_21rocsparse_index_base_b
    .private_segment_fixed_size: 0
    .sgpr_count:     40
    .sgpr_spill_count: 0
    .symbol:         _ZN9rocsparseL30bellmm_general_blockdim_kernelILi32ELi32EiiiiiEEv20rocsparse_operation_S1_20rocsparse_direction_T2_S3_NS_24const_host_device_scalarIT1_EES3_S3_PKS3_PKT3_PKT4_l16rocsparse_order_S6_PT5_lSF_21rocsparse_index_base_b.kd
    .uniform_work_group_size: 1
    .uses_dynamic_stack: false
    .vgpr_count:     38
    .vgpr_spill_count: 0
    .wavefront_size: 32
  - .args:
      - .offset:         0
        .size:           4
        .value_kind:     by_value
      - .offset:         4
        .size:           4
        .value_kind:     by_value
      - .offset:         8
        .size:           4
        .value_kind:     by_value
      - .offset:         16
        .size:           8
        .value_kind:     by_value
      - .offset:         24
        .size:           8
        .value_kind:     by_value
      - .offset:         32
        .size:           8
        .value_kind:     by_value
      - .offset:         40
        .size:           8
        .value_kind:     by_value
      - .offset:         48
        .size:           8
        .value_kind:     by_value
      - .actual_access:  read_only
        .address_space:  global
        .offset:         56
        .size:           8
        .value_kind:     global_buffer
      - .actual_access:  read_only
        .address_space:  global
        .offset:         64
        .size:           8
        .value_kind:     global_buffer
      - .actual_access:  read_only
        .address_space:  global
        .offset:         72
        .size:           8
        .value_kind:     global_buffer
      - .offset:         80
        .size:           8
        .value_kind:     by_value
      - .offset:         88
        .size:           4
        .value_kind:     by_value
      - .offset:         96
        .size:           8
        .value_kind:     by_value
      - .address_space:  global
        .offset:         104
        .size:           8
        .value_kind:     global_buffer
      - .offset:         112
        .size:           8
        .value_kind:     by_value
      - .offset:         120
        .size:           4
        .value_kind:     by_value
      - .offset:         124
        .size:           4
        .value_kind:     by_value
      - .offset:         128
        .size:           1
        .value_kind:     by_value
    .group_segment_fixed_size: 8192
    .kernarg_segment_align: 8
    .kernarg_segment_size: 132
    .language:       OpenCL C
    .language_version:
      - 2
      - 0
    .max_flat_workgroup_size: 1024
    .name:           _ZN9rocsparseL30bellmm_general_blockdim_kernelILi32ELi32EiliiiEEv20rocsparse_operation_S1_20rocsparse_direction_T2_S3_NS_24const_host_device_scalarIT1_EES3_S3_PKS3_PKT3_PKT4_l16rocsparse_order_S6_PT5_lSF_21rocsparse_index_base_b
    .private_segment_fixed_size: 0
    .sgpr_count:     50
    .sgpr_spill_count: 0
    .symbol:         _ZN9rocsparseL30bellmm_general_blockdim_kernelILi32ELi32EiliiiEEv20rocsparse_operation_S1_20rocsparse_direction_T2_S3_NS_24const_host_device_scalarIT1_EES3_S3_PKS3_PKT3_PKT4_l16rocsparse_order_S6_PT5_lSF_21rocsparse_index_base_b.kd
    .uniform_work_group_size: 1
    .uses_dynamic_stack: false
    .vgpr_count:     50
    .vgpr_spill_count: 0
    .wavefront_size: 32
  - .args:
      - .offset:         0
        .size:           4
        .value_kind:     by_value
      - .offset:         4
        .size:           4
        .value_kind:     by_value
      - .offset:         8
        .size:           4
        .value_kind:     by_value
      - .offset:         12
        .size:           4
        .value_kind:     by_value
      - .offset:         16
        .size:           4
        .value_kind:     by_value
      - .offset:         24
        .size:           8
        .value_kind:     by_value
      - .offset:         32
        .size:           4
        .value_kind:     by_value
      - .offset:         36
        .size:           4
        .value_kind:     by_value
      - .actual_access:  read_only
        .address_space:  global
        .offset:         40
        .size:           8
        .value_kind:     global_buffer
      - .actual_access:  read_only
        .address_space:  global
        .offset:         48
        .size:           8
        .value_kind:     global_buffer
      - .actual_access:  read_only
        .address_space:  global
        .offset:         56
        .size:           8
        .value_kind:     global_buffer
      - .offset:         64
        .size:           8
        .value_kind:     by_value
      - .offset:         72
        .size:           4
        .value_kind:     by_value
      - .offset:         80
        .size:           8
        .value_kind:     by_value
      - .address_space:  global
        .offset:         88
        .size:           8
        .value_kind:     global_buffer
      - .offset:         96
        .size:           8
        .value_kind:     by_value
      - .offset:         104
        .size:           4
        .value_kind:     by_value
      - .offset:         108
        .size:           4
        .value_kind:     by_value
      - .offset:         112
        .size:           1
        .value_kind:     by_value
    .group_segment_fixed_size: 8192
    .kernarg_segment_align: 8
    .kernarg_segment_size: 116
    .language:       OpenCL C
    .language_version:
      - 2
      - 0
    .max_flat_workgroup_size: 1024
    .name:           _ZN9rocsparseL30bellmm_general_blockdim_kernelILi32ELi32EfifffEEv20rocsparse_operation_S1_20rocsparse_direction_T2_S3_NS_24const_host_device_scalarIT1_EES3_S3_PKS3_PKT3_PKT4_l16rocsparse_order_S6_PT5_lSF_21rocsparse_index_base_b
    .private_segment_fixed_size: 0
    .sgpr_count:     40
    .sgpr_spill_count: 0
    .symbol:         _ZN9rocsparseL30bellmm_general_blockdim_kernelILi32ELi32EfifffEEv20rocsparse_operation_S1_20rocsparse_direction_T2_S3_NS_24const_host_device_scalarIT1_EES3_S3_PKS3_PKT3_PKT4_l16rocsparse_order_S6_PT5_lSF_21rocsparse_index_base_b.kd
    .uniform_work_group_size: 1
    .uses_dynamic_stack: false
    .vgpr_count:     40
    .vgpr_spill_count: 0
    .wavefront_size: 32
  - .args:
      - .offset:         0
        .size:           4
        .value_kind:     by_value
      - .offset:         4
        .size:           4
        .value_kind:     by_value
      - .offset:         8
        .size:           4
        .value_kind:     by_value
      - .offset:         16
        .size:           8
        .value_kind:     by_value
      - .offset:         24
        .size:           8
        .value_kind:     by_value
      - .offset:         32
        .size:           8
        .value_kind:     by_value
      - .offset:         40
        .size:           8
        .value_kind:     by_value
      - .offset:         48
        .size:           8
        .value_kind:     by_value
      - .actual_access:  read_only
        .address_space:  global
        .offset:         56
        .size:           8
        .value_kind:     global_buffer
      - .actual_access:  read_only
        .address_space:  global
        .offset:         64
        .size:           8
        .value_kind:     global_buffer
      - .actual_access:  read_only
        .address_space:  global
        .offset:         72
        .size:           8
        .value_kind:     global_buffer
      - .offset:         80
        .size:           8
        .value_kind:     by_value
      - .offset:         88
        .size:           4
        .value_kind:     by_value
      - .offset:         96
        .size:           8
        .value_kind:     by_value
      - .address_space:  global
        .offset:         104
        .size:           8
        .value_kind:     global_buffer
      - .offset:         112
        .size:           8
        .value_kind:     by_value
      - .offset:         120
        .size:           4
        .value_kind:     by_value
      - .offset:         124
        .size:           4
        .value_kind:     by_value
      - .offset:         128
        .size:           1
        .value_kind:     by_value
    .group_segment_fixed_size: 8192
    .kernarg_segment_align: 8
    .kernarg_segment_size: 132
    .language:       OpenCL C
    .language_version:
      - 2
      - 0
    .max_flat_workgroup_size: 1024
    .name:           _ZN9rocsparseL30bellmm_general_blockdim_kernelILi32ELi32EflfffEEv20rocsparse_operation_S1_20rocsparse_direction_T2_S3_NS_24const_host_device_scalarIT1_EES3_S3_PKS3_PKT3_PKT4_l16rocsparse_order_S6_PT5_lSF_21rocsparse_index_base_b
    .private_segment_fixed_size: 0
    .sgpr_count:     50
    .sgpr_spill_count: 0
    .symbol:         _ZN9rocsparseL30bellmm_general_blockdim_kernelILi32ELi32EflfffEEv20rocsparse_operation_S1_20rocsparse_direction_T2_S3_NS_24const_host_device_scalarIT1_EES3_S3_PKS3_PKT3_PKT4_l16rocsparse_order_S6_PT5_lSF_21rocsparse_index_base_b.kd
    .uniform_work_group_size: 1
    .uses_dynamic_stack: false
    .vgpr_count:     52
    .vgpr_spill_count: 0
    .wavefront_size: 32
  - .args:
      - .offset:         0
        .size:           4
        .value_kind:     by_value
      - .offset:         4
        .size:           4
        .value_kind:     by_value
      - .offset:         8
        .size:           4
        .value_kind:     by_value
      - .offset:         12
        .size:           4
        .value_kind:     by_value
      - .offset:         16
        .size:           4
        .value_kind:     by_value
      - .offset:         24
        .size:           8
        .value_kind:     by_value
      - .offset:         32
        .size:           4
        .value_kind:     by_value
      - .offset:         36
        .size:           4
        .value_kind:     by_value
      - .actual_access:  read_only
        .address_space:  global
        .offset:         40
        .size:           8
        .value_kind:     global_buffer
      - .actual_access:  read_only
        .address_space:  global
        .offset:         48
        .size:           8
        .value_kind:     global_buffer
      - .actual_access:  read_only
        .address_space:  global
        .offset:         56
        .size:           8
        .value_kind:     global_buffer
      - .offset:         64
        .size:           8
        .value_kind:     by_value
      - .offset:         72
        .size:           4
        .value_kind:     by_value
      - .offset:         80
        .size:           8
        .value_kind:     by_value
      - .address_space:  global
        .offset:         88
        .size:           8
        .value_kind:     global_buffer
      - .offset:         96
        .size:           8
        .value_kind:     by_value
      - .offset:         104
        .size:           4
        .value_kind:     by_value
      - .offset:         108
        .size:           4
        .value_kind:     by_value
      - .offset:         112
        .size:           1
        .value_kind:     by_value
    .group_segment_fixed_size: 16384
    .kernarg_segment_align: 8
    .kernarg_segment_size: 116
    .language:       OpenCL C
    .language_version:
      - 2
      - 0
    .max_flat_workgroup_size: 1024
    .name:           _ZN9rocsparseL30bellmm_general_blockdim_kernelILi32ELi32EdidddEEv20rocsparse_operation_S1_20rocsparse_direction_T2_S3_NS_24const_host_device_scalarIT1_EES3_S3_PKS3_PKT3_PKT4_l16rocsparse_order_S6_PT5_lSF_21rocsparse_index_base_b
    .private_segment_fixed_size: 0
    .sgpr_count:     38
    .sgpr_spill_count: 0
    .symbol:         _ZN9rocsparseL30bellmm_general_blockdim_kernelILi32ELi32EdidddEEv20rocsparse_operation_S1_20rocsparse_direction_T2_S3_NS_24const_host_device_scalarIT1_EES3_S3_PKS3_PKT3_PKT4_l16rocsparse_order_S6_PT5_lSF_21rocsparse_index_base_b.kd
    .uniform_work_group_size: 1
    .uses_dynamic_stack: false
    .vgpr_count:     46
    .vgpr_spill_count: 0
    .wavefront_size: 32
  - .args:
      - .offset:         0
        .size:           4
        .value_kind:     by_value
      - .offset:         4
        .size:           4
        .value_kind:     by_value
      - .offset:         8
        .size:           4
        .value_kind:     by_value
      - .offset:         16
        .size:           8
        .value_kind:     by_value
      - .offset:         24
        .size:           8
        .value_kind:     by_value
      - .offset:         32
        .size:           8
        .value_kind:     by_value
      - .offset:         40
        .size:           8
        .value_kind:     by_value
      - .offset:         48
        .size:           8
        .value_kind:     by_value
      - .actual_access:  read_only
        .address_space:  global
        .offset:         56
        .size:           8
        .value_kind:     global_buffer
      - .actual_access:  read_only
        .address_space:  global
        .offset:         64
        .size:           8
        .value_kind:     global_buffer
      - .actual_access:  read_only
        .address_space:  global
        .offset:         72
        .size:           8
        .value_kind:     global_buffer
      - .offset:         80
        .size:           8
        .value_kind:     by_value
      - .offset:         88
        .size:           4
        .value_kind:     by_value
      - .offset:         96
        .size:           8
        .value_kind:     by_value
      - .address_space:  global
        .offset:         104
        .size:           8
        .value_kind:     global_buffer
      - .offset:         112
        .size:           8
        .value_kind:     by_value
      - .offset:         120
        .size:           4
        .value_kind:     by_value
      - .offset:         124
        .size:           4
        .value_kind:     by_value
      - .offset:         128
        .size:           1
        .value_kind:     by_value
    .group_segment_fixed_size: 16384
    .kernarg_segment_align: 8
    .kernarg_segment_size: 132
    .language:       OpenCL C
    .language_version:
      - 2
      - 0
    .max_flat_workgroup_size: 1024
    .name:           _ZN9rocsparseL30bellmm_general_blockdim_kernelILi32ELi32EdldddEEv20rocsparse_operation_S1_20rocsparse_direction_T2_S3_NS_24const_host_device_scalarIT1_EES3_S3_PKS3_PKT3_PKT4_l16rocsparse_order_S6_PT5_lSF_21rocsparse_index_base_b
    .private_segment_fixed_size: 0
    .sgpr_count:     48
    .sgpr_spill_count: 0
    .symbol:         _ZN9rocsparseL30bellmm_general_blockdim_kernelILi32ELi32EdldddEEv20rocsparse_operation_S1_20rocsparse_direction_T2_S3_NS_24const_host_device_scalarIT1_EES3_S3_PKS3_PKT3_PKT4_l16rocsparse_order_S6_PT5_lSF_21rocsparse_index_base_b.kd
    .uniform_work_group_size: 1
    .uses_dynamic_stack: false
    .vgpr_count:     58
    .vgpr_spill_count: 0
    .wavefront_size: 32
  - .args:
      - .offset:         0
        .size:           4
        .value_kind:     by_value
      - .offset:         4
        .size:           4
        .value_kind:     by_value
      - .offset:         8
        .size:           4
        .value_kind:     by_value
      - .offset:         12
        .size:           4
        .value_kind:     by_value
      - .offset:         16
        .size:           4
        .value_kind:     by_value
      - .offset:         24
        .size:           8
        .value_kind:     by_value
      - .offset:         32
        .size:           4
        .value_kind:     by_value
      - .offset:         36
        .size:           4
        .value_kind:     by_value
      - .actual_access:  read_only
        .address_space:  global
        .offset:         40
        .size:           8
        .value_kind:     global_buffer
      - .actual_access:  read_only
        .address_space:  global
        .offset:         48
        .size:           8
        .value_kind:     global_buffer
      - .actual_access:  read_only
        .address_space:  global
        .offset:         56
        .size:           8
        .value_kind:     global_buffer
      - .offset:         64
        .size:           8
        .value_kind:     by_value
      - .offset:         72
        .size:           4
        .value_kind:     by_value
      - .offset:         80
        .size:           8
        .value_kind:     by_value
      - .address_space:  global
        .offset:         88
        .size:           8
        .value_kind:     global_buffer
      - .offset:         96
        .size:           8
        .value_kind:     by_value
      - .offset:         104
        .size:           4
        .value_kind:     by_value
      - .offset:         108
        .size:           4
        .value_kind:     by_value
      - .offset:         112
        .size:           1
        .value_kind:     by_value
    .group_segment_fixed_size: 16384
    .kernarg_segment_align: 8
    .kernarg_segment_size: 116
    .language:       OpenCL C
    .language_version:
      - 2
      - 0
    .max_flat_workgroup_size: 1024
    .name:           _ZN9rocsparseL30bellmm_general_blockdim_kernelILi32ELi32E21rocsparse_complex_numIfEiS2_S2_S2_EEv20rocsparse_operation_S3_20rocsparse_direction_T2_S5_NS_24const_host_device_scalarIT1_EES5_S5_PKS5_PKT3_PKT4_l16rocsparse_order_S8_PT5_lSH_21rocsparse_index_base_b
    .private_segment_fixed_size: 0
    .sgpr_count:     41
    .sgpr_spill_count: 0
    .symbol:         _ZN9rocsparseL30bellmm_general_blockdim_kernelILi32ELi32E21rocsparse_complex_numIfEiS2_S2_S2_EEv20rocsparse_operation_S3_20rocsparse_direction_T2_S5_NS_24const_host_device_scalarIT1_EES5_S5_PKS5_PKT3_PKT4_l16rocsparse_order_S8_PT5_lSH_21rocsparse_index_base_b.kd
    .uniform_work_group_size: 1
    .uses_dynamic_stack: false
    .vgpr_count:     60
    .vgpr_spill_count: 0
    .wavefront_size: 32
  - .args:
      - .offset:         0
        .size:           4
        .value_kind:     by_value
      - .offset:         4
        .size:           4
        .value_kind:     by_value
      - .offset:         8
        .size:           4
        .value_kind:     by_value
      - .offset:         16
        .size:           8
        .value_kind:     by_value
      - .offset:         24
        .size:           8
        .value_kind:     by_value
      - .offset:         32
        .size:           8
        .value_kind:     by_value
      - .offset:         40
        .size:           8
        .value_kind:     by_value
      - .offset:         48
        .size:           8
        .value_kind:     by_value
      - .actual_access:  read_only
        .address_space:  global
        .offset:         56
        .size:           8
        .value_kind:     global_buffer
      - .actual_access:  read_only
        .address_space:  global
        .offset:         64
        .size:           8
        .value_kind:     global_buffer
      - .actual_access:  read_only
        .address_space:  global
        .offset:         72
        .size:           8
        .value_kind:     global_buffer
      - .offset:         80
        .size:           8
        .value_kind:     by_value
      - .offset:         88
        .size:           4
        .value_kind:     by_value
      - .offset:         96
        .size:           8
        .value_kind:     by_value
      - .address_space:  global
        .offset:         104
        .size:           8
        .value_kind:     global_buffer
      - .offset:         112
        .size:           8
        .value_kind:     by_value
      - .offset:         120
        .size:           4
        .value_kind:     by_value
      - .offset:         124
        .size:           4
        .value_kind:     by_value
      - .offset:         128
        .size:           1
        .value_kind:     by_value
    .group_segment_fixed_size: 16384
    .kernarg_segment_align: 8
    .kernarg_segment_size: 132
    .language:       OpenCL C
    .language_version:
      - 2
      - 0
    .max_flat_workgroup_size: 1024
    .name:           _ZN9rocsparseL30bellmm_general_blockdim_kernelILi32ELi32E21rocsparse_complex_numIfElS2_S2_S2_EEv20rocsparse_operation_S3_20rocsparse_direction_T2_S5_NS_24const_host_device_scalarIT1_EES5_S5_PKS5_PKT3_PKT4_l16rocsparse_order_S8_PT5_lSH_21rocsparse_index_base_b
    .private_segment_fixed_size: 0
    .sgpr_count:     57
    .sgpr_spill_count: 0
    .symbol:         _ZN9rocsparseL30bellmm_general_blockdim_kernelILi32ELi32E21rocsparse_complex_numIfElS2_S2_S2_EEv20rocsparse_operation_S3_20rocsparse_direction_T2_S5_NS_24const_host_device_scalarIT1_EES5_S5_PKS5_PKT3_PKT4_l16rocsparse_order_S8_PT5_lSH_21rocsparse_index_base_b.kd
    .uniform_work_group_size: 1
    .uses_dynamic_stack: false
    .vgpr_count:     70
    .vgpr_spill_count: 0
    .wavefront_size: 32
  - .args:
      - .offset:         0
        .size:           4
        .value_kind:     by_value
      - .offset:         4
        .size:           4
        .value_kind:     by_value
      - .offset:         8
        .size:           4
        .value_kind:     by_value
      - .offset:         12
        .size:           4
        .value_kind:     by_value
      - .offset:         16
        .size:           4
        .value_kind:     by_value
      - .offset:         24
        .size:           16
        .value_kind:     by_value
      - .offset:         40
        .size:           4
        .value_kind:     by_value
      - .offset:         44
        .size:           4
        .value_kind:     by_value
      - .actual_access:  read_only
        .address_space:  global
        .offset:         48
        .size:           8
        .value_kind:     global_buffer
      - .actual_access:  read_only
        .address_space:  global
        .offset:         56
        .size:           8
        .value_kind:     global_buffer
      - .actual_access:  read_only
        .address_space:  global
        .offset:         64
        .size:           8
        .value_kind:     global_buffer
      - .offset:         72
        .size:           8
        .value_kind:     by_value
      - .offset:         80
        .size:           4
        .value_kind:     by_value
      - .offset:         88
        .size:           16
        .value_kind:     by_value
      - .address_space:  global
        .offset:         104
        .size:           8
        .value_kind:     global_buffer
      - .offset:         112
        .size:           8
        .value_kind:     by_value
      - .offset:         120
        .size:           4
        .value_kind:     by_value
      - .offset:         124
        .size:           4
        .value_kind:     by_value
      - .offset:         128
        .size:           1
        .value_kind:     by_value
    .group_segment_fixed_size: 32768
    .kernarg_segment_align: 8
    .kernarg_segment_size: 132
    .language:       OpenCL C
    .language_version:
      - 2
      - 0
    .max_flat_workgroup_size: 1024
    .name:           _ZN9rocsparseL30bellmm_general_blockdim_kernelILi32ELi32E21rocsparse_complex_numIdEiS2_S2_S2_EEv20rocsparse_operation_S3_20rocsparse_direction_T2_S5_NS_24const_host_device_scalarIT1_EES5_S5_PKS5_PKT3_PKT4_l16rocsparse_order_S8_PT5_lSH_21rocsparse_index_base_b
    .private_segment_fixed_size: 0
    .sgpr_count:     40
    .sgpr_spill_count: 0
    .symbol:         _ZN9rocsparseL30bellmm_general_blockdim_kernelILi32ELi32E21rocsparse_complex_numIdEiS2_S2_S2_EEv20rocsparse_operation_S3_20rocsparse_direction_T2_S5_NS_24const_host_device_scalarIT1_EES5_S5_PKS5_PKT3_PKT4_l16rocsparse_order_S8_PT5_lSH_21rocsparse_index_base_b.kd
    .uniform_work_group_size: 1
    .uses_dynamic_stack: false
    .vgpr_count:     52
    .vgpr_spill_count: 0
    .wavefront_size: 32
  - .args:
      - .offset:         0
        .size:           4
        .value_kind:     by_value
      - .offset:         4
        .size:           4
        .value_kind:     by_value
      - .offset:         8
        .size:           4
        .value_kind:     by_value
      - .offset:         16
        .size:           8
        .value_kind:     by_value
      - .offset:         24
        .size:           8
        .value_kind:     by_value
      - .offset:         32
        .size:           16
        .value_kind:     by_value
      - .offset:         48
        .size:           8
        .value_kind:     by_value
      - .offset:         56
        .size:           8
        .value_kind:     by_value
      - .actual_access:  read_only
        .address_space:  global
        .offset:         64
        .size:           8
        .value_kind:     global_buffer
      - .actual_access:  read_only
        .address_space:  global
        .offset:         72
        .size:           8
        .value_kind:     global_buffer
      - .actual_access:  read_only
        .address_space:  global
        .offset:         80
        .size:           8
        .value_kind:     global_buffer
      - .offset:         88
        .size:           8
        .value_kind:     by_value
      - .offset:         96
        .size:           4
        .value_kind:     by_value
      - .offset:         104
        .size:           16
        .value_kind:     by_value
      - .address_space:  global
        .offset:         120
        .size:           8
        .value_kind:     global_buffer
      - .offset:         128
        .size:           8
        .value_kind:     by_value
      - .offset:         136
        .size:           4
        .value_kind:     by_value
      - .offset:         140
        .size:           4
        .value_kind:     by_value
      - .offset:         144
        .size:           1
        .value_kind:     by_value
    .group_segment_fixed_size: 32768
    .kernarg_segment_align: 8
    .kernarg_segment_size: 148
    .language:       OpenCL C
    .language_version:
      - 2
      - 0
    .max_flat_workgroup_size: 1024
    .name:           _ZN9rocsparseL30bellmm_general_blockdim_kernelILi32ELi32E21rocsparse_complex_numIdElS2_S2_S2_EEv20rocsparse_operation_S3_20rocsparse_direction_T2_S5_NS_24const_host_device_scalarIT1_EES5_S5_PKS5_PKT3_PKT4_l16rocsparse_order_S8_PT5_lSH_21rocsparse_index_base_b
    .private_segment_fixed_size: 0
    .sgpr_count:     51
    .sgpr_spill_count: 0
    .symbol:         _ZN9rocsparseL30bellmm_general_blockdim_kernelILi32ELi32E21rocsparse_complex_numIdElS2_S2_S2_EEv20rocsparse_operation_S3_20rocsparse_direction_T2_S5_NS_24const_host_device_scalarIT1_EES5_S5_PKS5_PKT3_PKT4_l16rocsparse_order_S8_PT5_lSH_21rocsparse_index_base_b.kd
    .uniform_work_group_size: 1
    .uses_dynamic_stack: false
    .vgpr_count:     66
    .vgpr_spill_count: 0
    .wavefront_size: 32
amdhsa.target:   amdgcn-amd-amdhsa--gfx1250
amdhsa.version:
  - 1
  - 2
...

	.end_amdgpu_metadata
